;; amdgpu-corpus repo=ROCm/rocFFT kind=compiled arch=gfx1030 opt=O3
	.text
	.amdgcn_target "amdgcn-amd-amdhsa--gfx1030"
	.amdhsa_code_object_version 6
	.protected	bluestein_single_back_len1782_dim1_dp_op_CI_CI ; -- Begin function bluestein_single_back_len1782_dim1_dp_op_CI_CI
	.globl	bluestein_single_back_len1782_dim1_dp_op_CI_CI
	.p2align	8
	.type	bluestein_single_back_len1782_dim1_dp_op_CI_CI,@function
bluestein_single_back_len1782_dim1_dp_op_CI_CI: ; @bluestein_single_back_len1782_dim1_dp_op_CI_CI
; %bb.0:
	s_load_dwordx4 s[12:15], s[4:5], 0x28
	v_mul_u32_u24_e32 v1, 0x296, v0
	s_mov_b64 s[42:43], s[2:3]
	s_mov_b64 s[40:41], s[0:1]
	v_mov_b32_e32 v9, 0
	s_add_u32 s40, s40, s7
	v_lshrrev_b32_e32 v1, 16, v1
	s_addc_u32 s41, s41, 0
	s_mov_b32 s0, exec_lo
	v_add_nc_u32_e32 v8, s6, v1
	s_waitcnt lgkmcnt(0)
	v_cmpx_gt_u64_e64 s[12:13], v[8:9]
	s_cbranch_execz .LBB0_15
; %bb.1:
	s_clause 0x1
	s_load_dwordx4 s[8:11], s[4:5], 0x18
	s_load_dwordx2 s[6:7], s[4:5], 0x0
	v_mul_lo_u16 v1, 0x63, v1
	v_mov_b32_e32 v9, v8
	v_sub_nc_u16 v92, v0, v1
	v_and_b32_e32 v216, 0xffff, v92
	v_lshlrev_b32_e32 v190, 4, v216
	s_waitcnt lgkmcnt(0)
	s_load_dwordx4 s[0:3], s[8:9], 0x0
	v_add_co_u32 v88, s8, s6, v190
	v_add_co_ci_u32_e64 v89, null, s7, 0, s8
	global_load_dwordx4 v[93:96], v190, s[6:7]
	v_add_co_u32 v0, vcc_lo, 0x800, v88
	v_add_co_ci_u32_e32 v1, vcc_lo, 0, v89, vcc_lo
	v_add_co_u32 v13, vcc_lo, 0x1000, v88
	v_add_co_ci_u32_e32 v14, vcc_lo, 0, v89, vcc_lo
	buffer_store_dword v9, off, s[40:43], 0 offset:120 ; 4-byte Folded Spill
	buffer_store_dword v10, off, s[40:43], 0 offset:124 ; 4-byte Folded Spill
	global_load_dwordx4 v[133:136], v[0:1], off offset:544
	buffer_store_dword v13, off, s[40:43], 0 offset:104 ; 4-byte Folded Spill
	buffer_store_dword v14, off, s[40:43], 0 offset:108 ; 4-byte Folded Spill
	v_add_co_u32 v18, vcc_lo, 0x1800, v88
	v_add_co_ci_u32_e32 v19, vcc_lo, 0, v89, vcc_lo
	v_add_co_u32 v11, vcc_lo, 0x2800, v88
	v_add_co_ci_u32_e32 v12, vcc_lo, 0, v89, vcc_lo
	;; [unrolled: 2-line block ×5, first 2 shown]
	s_waitcnt lgkmcnt(0)
	v_mad_u64_u32 v[2:3], null, s2, v8, 0
	v_mad_u64_u32 v[4:5], null, s0, v216, 0
	v_add_co_u32 v40, vcc_lo, 0x5000, v88
	v_add_co_ci_u32_e32 v41, vcc_lo, 0, v89, vcc_lo
	s_mul_hi_u32 s6, s0, 0xa2
	s_mul_i32 s2, s0, 0xa2
	v_mad_u64_u32 v[8:9], null, s3, v8, v[3:4]
	v_mad_u64_u32 v[9:10], null, s1, v216, v[5:6]
	s_mul_i32 s3, s1, 0xa2
	s_add_i32 s3, s6, s3
	v_mov_b32_e32 v3, v8
	s_lshl_b64 s[6:7], s[2:3], 4
	v_mov_b32_e32 v5, v9
	v_lshlrev_b64 v[2:3], 4, v[2:3]
	v_lshlrev_b64 v[4:5], 4, v[4:5]
	v_add_co_u32 v2, vcc_lo, s14, v2
	v_add_co_ci_u32_e32 v3, vcc_lo, s15, v3, vcc_lo
	v_add_co_u32 v2, vcc_lo, v2, v4
	v_add_co_ci_u32_e32 v3, vcc_lo, v3, v5, vcc_lo
	;; [unrolled: 2-line block ×4, first 2 shown]
	global_load_dwordx4 v[129:132], v[13:14], off offset:1088
	buffer_store_dword v18, off, s[40:43], 0 offset:112 ; 4-byte Folded Spill
	buffer_store_dword v19, off, s[40:43], 0 offset:116 ; 4-byte Folded Spill
	v_add_co_u32 v14, vcc_lo, v0, s6
	v_add_co_ci_u32_e32 v15, vcc_lo, s7, v1, vcc_lo
	global_load_dwordx4 v[113:116], v[18:19], off offset:1632
	buffer_store_dword v11, off, s[40:43], 0 offset:72 ; 4-byte Folded Spill
	buffer_store_dword v12, off, s[40:43], 0 offset:76 ; 4-byte Folded Spill
	v_add_co_u32 v18, vcc_lo, v14, s6
	v_add_co_ci_u32_e32 v19, vcc_lo, s7, v15, vcc_lo
	global_load_dwordx4 v[105:108], v[6:7], off offset:672
	v_add_co_u32 v22, vcc_lo, v18, s6
	v_add_co_ci_u32_e32 v23, vcc_lo, s7, v19, vcc_lo
	v_add_co_u32 v26, vcc_lo, v22, s6
	v_add_co_ci_u32_e32 v27, vcc_lo, s7, v23, vcc_lo
	;; [unrolled: 2-line block ×3, first 2 shown]
	global_load_dwordx4 v[109:112], v[11:12], off offset:128
	buffer_store_dword v20, off, s[40:43], 0 offset:88 ; 4-byte Folded Spill
	buffer_store_dword v21, off, s[40:43], 0 offset:92 ; 4-byte Folded Spill
	global_load_dwordx4 v[101:104], v[20:21], off offset:1216
	buffer_store_dword v16, off, s[40:43], 0 offset:80 ; 4-byte Folded Spill
	buffer_store_dword v17, off, s[40:43], 0 offset:84 ; 4-byte Folded Spill
	global_load_dwordx4 v[97:100], v[16:17], off offset:1760
	s_clause 0x3
	global_load_dwordx4 v[2:5], v[2:3], off
	global_load_dwordx4 v[6:9], v[8:9], off
	;; [unrolled: 1-line block ×4, first 2 shown]
	v_add_co_u32 v0, vcc_lo, v30, s6
	v_add_co_ci_u32_e32 v1, vcc_lo, s7, v31, vcc_lo
	global_load_dwordx4 v[18:21], v[18:19], off
	global_load_dwordx4 v[22:25], v[22:23], off
	;; [unrolled: 1-line block ×5, first 2 shown]
	buffer_store_dword v40, off, s[40:43], 0 offset:64 ; 4-byte Folded Spill
	buffer_store_dword v41, off, s[40:43], 0 offset:68 ; 4-byte Folded Spill
	v_add_co_u32 v38, vcc_lo, v0, s6
	v_add_co_ci_u32_e32 v39, vcc_lo, s7, v1, vcc_lo
	v_add_co_u32 v42, vcc_lo, 0x5800, v88
	v_add_co_ci_u32_e32 v43, vcc_lo, 0, v89, vcc_lo
	;; [unrolled: 2-line block ×4, first 2 shown]
	v_cmp_gt_u16_e32 vcc_lo, 63, v92
	global_load_dwordx4 v[117:120], v[40:41], off offset:256
	global_load_dwordx4 v[38:41], v[38:39], off
	global_load_dwordx4 v[121:124], v[42:43], off offset:800
	buffer_store_dword v44, off, s[40:43], 0 offset:96 ; 4-byte Folded Spill
	buffer_store_dword v45, off, s[40:43], 0 offset:100 ; 4-byte Folded Spill
	s_waitcnt vmcnt(11)
	v_mul_f64 v[46:47], v[4:5], v[95:96]
	s_waitcnt vmcnt(10)
	v_mul_f64 v[50:51], v[8:9], v[135:136]
	;; [unrolled: 2-line block ×8, first 2 shown]
	v_mul_f64 v[48:49], v[2:3], v[95:96]
	v_mul_f64 v[52:53], v[6:7], v[135:136]
	;; [unrolled: 1-line block ×8, first 2 shown]
	global_load_dwordx4 v[125:128], v[44:45], off offset:1344
	global_load_dwordx4 v[42:45], v[0:1], off
	s_waitcnt vmcnt(4)
	v_mul_f64 v[78:79], v[36:37], v[119:120]
	s_waitcnt vmcnt(2)
	v_mul_f64 v[82:83], v[40:41], v[123:124]
	v_fma_f64 v[2:3], v[2:3], v[93:94], v[46:47]
	buffer_store_dword v93, off, s[40:43], 0 offset:132 ; 4-byte Folded Spill
	buffer_store_dword v94, off, s[40:43], 0 offset:136 ; 4-byte Folded Spill
	buffer_store_dword v95, off, s[40:43], 0 offset:140 ; 4-byte Folded Spill
	buffer_store_dword v96, off, s[40:43], 0 offset:144 ; 4-byte Folded Spill
	v_fma_f64 v[6:7], v[6:7], v[133:134], v[50:51]
	buffer_store_dword v133, off, s[40:43], 0 offset:292 ; 4-byte Folded Spill
	buffer_store_dword v134, off, s[40:43], 0 offset:296 ; 4-byte Folded Spill
	buffer_store_dword v135, off, s[40:43], 0 offset:300 ; 4-byte Folded Spill
	buffer_store_dword v136, off, s[40:43], 0 offset:304 ; 4-byte Folded Spill
	;; [unrolled: 5-line block ×8, first 2 shown]
	v_mul_f64 v[80:81], v[34:35], v[119:120]
	v_mul_f64 v[84:85], v[38:39], v[123:124]
	v_fma_f64 v[34:35], v[34:35], v[117:118], v[78:79]
	buffer_store_dword v117, off, s[40:43], 0 offset:228 ; 4-byte Folded Spill
	buffer_store_dword v118, off, s[40:43], 0 offset:232 ; 4-byte Folded Spill
	;; [unrolled: 1-line block ×4, first 2 shown]
	v_fma_f64 v[38:39], v[38:39], v[121:122], v[82:83]
	buffer_store_dword v121, off, s[40:43], 0 offset:244 ; 4-byte Folded Spill
	buffer_store_dword v122, off, s[40:43], 0 offset:248 ; 4-byte Folded Spill
	;; [unrolled: 1-line block ×4, first 2 shown]
	s_waitcnt vmcnt(0)
	v_mul_f64 v[86:87], v[44:45], v[127:128]
	v_mul_f64 v[90:91], v[42:43], v[127:128]
	v_fma_f64 v[4:5], v[4:5], v[93:94], -v[48:49]
	v_fma_f64 v[8:9], v[8:9], v[133:134], -v[52:53]
	v_fma_f64 v[12:13], v[12:13], v[129:130], -v[56:57]
	v_fma_f64 v[16:17], v[16:17], v[113:114], -v[60:61]
	v_fma_f64 v[20:21], v[20:21], v[109:110], -v[64:65]
	v_fma_f64 v[24:25], v[24:25], v[105:106], -v[68:69]
	v_fma_f64 v[28:29], v[28:29], v[101:102], -v[72:73]
	v_fma_f64 v[32:33], v[32:33], v[97:98], -v[76:77]
	v_fma_f64 v[36:37], v[36:37], v[117:118], -v[80:81]
	v_fma_f64 v[42:43], v[42:43], v[125:126], v[86:87]
	buffer_store_dword v125, off, s[40:43], 0 offset:260 ; 4-byte Folded Spill
	buffer_store_dword v126, off, s[40:43], 0 offset:264 ; 4-byte Folded Spill
	;; [unrolled: 1-line block ×4, first 2 shown]
	v_fma_f64 v[40:41], v[40:41], v[121:122], -v[84:85]
	s_load_dwordx2 s[2:3], s[4:5], 0x38
	s_load_dwordx4 s[8:11], s[10:11], 0x0
	ds_write_b128 v190, v[2:5]
	ds_write_b128 v190, v[6:9] offset:2592
	ds_write_b128 v190, v[10:13] offset:5184
	;; [unrolled: 1-line block ×6, first 2 shown]
	v_fma_f64 v[44:45], v[44:45], v[125:126], -v[90:91]
	ds_write_b128 v190, v[30:33] offset:18144
	ds_write_b128 v190, v[34:37] offset:20736
	;; [unrolled: 1-line block ×4, first 2 shown]
	s_and_saveexec_b32 s12, vcc_lo
	s_cbranch_execz .LBB0_3
; %bb.2:
	v_mad_u64_u32 v[8:9], null, 0xffffa0f0, s0, v[0:1]
	global_load_dwordx4 v[0:3], v[88:89], off offset:1584
	s_clause 0x1
	buffer_load_dword v4, off, s[40:43], 0 offset:104
	buffer_load_dword v5, off, s[40:43], 0 offset:108
	s_mulk_i32 s1, 0xa0f0
	s_sub_i32 s0, s1, s0
	v_add_nc_u32_e32 v9, s0, v9
	v_add_co_u32 v12, s0, v8, s6
	v_add_co_ci_u32_e64 v13, s0, s7, v9, s0
	v_add_co_u32 v16, s0, v12, s6
	v_add_co_ci_u32_e64 v17, s0, s7, v13, s0
	;; [unrolled: 2-line block ×3, first 2 shown]
	v_add_co_u32 v28, s0, v24, s6
	s_waitcnt vmcnt(0)
	global_load_dwordx4 v[4:7], v[4:5], off offset:80
	global_load_dwordx4 v[8:11], v[8:9], off
	global_load_dwordx4 v[12:15], v[12:13], off
	;; [unrolled: 1-line block ×4, first 2 shown]
	v_add_co_ci_u32_e64 v29, s0, s7, v25, s0
	v_add_co_u32 v24, s0, 0x2000, v88
	v_add_co_ci_u32_e64 v25, s0, 0, v89, s0
	v_add_co_u32 v40, s0, v28, s6
	v_add_co_ci_u32_e64 v41, s0, s7, v29, s0
	global_load_dwordx4 v[24:27], v[24:25], off offset:1168
	global_load_dwordx4 v[28:31], v[28:29], off
	s_clause 0x1
	buffer_load_dword v32, off, s[40:43], 0 offset:112
	buffer_load_dword v33, off, s[40:43], 0 offset:116
	v_add_co_u32 v48, s0, v40, s6
	v_add_co_ci_u32_e64 v49, s0, s7, v41, s0
	v_add_co_u32 v56, s0, v48, s6
	v_add_co_ci_u32_e64 v57, s0, s7, v49, s0
	;; [unrolled: 2-line block ×7, first 2 shown]
	s_waitcnt vmcnt(7)
	v_mul_f64 v[90:91], v[10:11], v[2:3]
	v_mul_f64 v[2:3], v[8:9], v[2:3]
	s_waitcnt vmcnt(6)
	v_mul_f64 v[92:93], v[14:15], v[6:7]
	v_mul_f64 v[94:95], v[12:13], v[6:7]
	;; [unrolled: 3-line block ×3, first 2 shown]
	s_waitcnt vmcnt(0)
	global_load_dwordx4 v[32:35], v[32:33], off offset:624
	s_clause 0x1
	buffer_load_dword v36, off, s[40:43], 0 offset:72
	buffer_load_dword v37, off, s[40:43], 0 offset:76
	s_waitcnt vmcnt(0)
	global_load_dwordx4 v[36:39], v[36:37], off offset:1712
	global_load_dwordx4 v[40:43], v[40:41], off
	global_load_dwordx4 v[44:47], v[48:49], off
	s_clause 0x1
	buffer_load_dword v48, off, s[40:43], 0 offset:88
	buffer_load_dword v49, off, s[40:43], 0 offset:92
	v_mul_f64 v[96:97], v[18:19], v[34:35]
	v_mul_f64 v[34:35], v[16:17], v[34:35]
	v_fma_f64 v[6:7], v[8:9], v[0:1], v[90:91]
	v_fma_f64 v[8:9], v[10:11], v[0:1], -v[2:3]
	v_fma_f64 v[0:1], v[12:13], v[4:5], v[92:93]
	v_fma_f64 v[2:3], v[14:15], v[4:5], -v[94:95]
	v_fma_f64 v[14:15], v[20:21], v[24:25], v[98:99]
	v_fma_f64 v[10:11], v[16:17], v[32:33], v[96:97]
	v_fma_f64 v[12:13], v[18:19], v[32:33], -v[34:35]
	v_fma_f64 v[16:17], v[22:23], v[24:25], -v[26:27]
	s_waitcnt vmcnt(4)
	v_mul_f64 v[100:101], v[30:31], v[38:39]
	v_mul_f64 v[38:39], v[28:29], v[38:39]
	s_waitcnt vmcnt(0)
	global_load_dwordx4 v[48:51], v[48:49], off offset:208
	s_clause 0x1
	buffer_load_dword v52, off, s[40:43], 0 offset:80
	buffer_load_dword v53, off, s[40:43], 0 offset:84
	s_waitcnt vmcnt(0)
	global_load_dwordx4 v[52:55], v[52:53], off offset:752
	global_load_dwordx4 v[56:59], v[56:57], off
	global_load_dwordx4 v[60:63], v[60:61], off offset:1296
	global_load_dwordx4 v[64:67], v[68:69], off
	s_clause 0x1
	buffer_load_dword v68, off, s[40:43], 0 offset:64
	buffer_load_dword v69, off, s[40:43], 0 offset:68
	v_mul_f64 v[102:103], v[42:43], v[50:51]
	v_mul_f64 v[50:51], v[40:41], v[50:51]
	v_fma_f64 v[18:19], v[28:29], v[36:37], v[100:101]
	v_fma_f64 v[20:21], v[30:31], v[36:37], -v[38:39]
	s_waitcnt vmcnt(0)
	global_load_dwordx4 v[68:71], v[68:69], off offset:1840
	global_load_dwordx4 v[72:75], v[72:73], off
	s_clause 0x1
	buffer_load_dword v76, off, s[40:43], 0 offset:96
	buffer_load_dword v77, off, s[40:43], 0 offset:100
	v_mul_f64 v[104:105], v[46:47], v[54:55]
	v_mul_f64 v[54:55], v[44:45], v[54:55]
	;; [unrolled: 1-line block ×4, first 2 shown]
	v_fma_f64 v[22:23], v[40:41], v[48:49], v[102:103]
	v_fma_f64 v[24:25], v[42:43], v[48:49], -v[50:51]
	s_waitcnt vmcnt(0)
	s_clause 0x1
	global_load_dwordx4 v[76:79], v[76:77], off offset:336
	global_load_dwordx4 v[80:83], v[80:81], off offset:880
	global_load_dwordx4 v[84:87], v[84:85], off
	v_mul_f64 v[108:109], v[66:67], v[70:71]
	v_mul_f64 v[70:71], v[64:65], v[70:71]
	v_fma_f64 v[26:27], v[44:45], v[52:53], v[104:105]
	v_fma_f64 v[28:29], v[46:47], v[52:53], -v[54:55]
	v_fma_f64 v[30:31], v[56:57], v[60:61], v[106:107]
	v_fma_f64 v[32:33], v[58:59], v[60:61], -v[62:63]
	v_fma_f64 v[34:35], v[64:65], v[68:69], v[108:109]
	v_fma_f64 v[36:37], v[66:67], v[68:69], -v[70:71]
	s_waitcnt vmcnt(2)
	v_mul_f64 v[110:111], v[74:75], v[78:79]
	v_mul_f64 v[78:79], v[72:73], v[78:79]
	s_waitcnt vmcnt(0)
	v_mul_f64 v[112:113], v[86:87], v[82:83]
	v_mul_f64 v[82:83], v[84:85], v[82:83]
	v_fma_f64 v[38:39], v[72:73], v[76:77], v[110:111]
	v_fma_f64 v[40:41], v[74:75], v[76:77], -v[78:79]
	v_fma_f64 v[42:43], v[84:85], v[80:81], v[112:113]
	v_fma_f64 v[44:45], v[86:87], v[80:81], -v[82:83]
	ds_write_b128 v190, v[6:9] offset:1584
	ds_write_b128 v190, v[0:3] offset:4176
	;; [unrolled: 1-line block ×11, first 2 shown]
.LBB0_3:
	s_or_b32 exec_lo, exec_lo, s12
	s_waitcnt lgkmcnt(0)
	s_waitcnt_vscnt null, 0x0
	s_barrier
	buffer_gl0_inv
	ds_read_b128 v[28:31], v190
	ds_read_b128 v[40:43], v190 offset:2592
	ds_read_b128 v[44:47], v190 offset:5184
	;; [unrolled: 1-line block ×10, first 2 shown]
	s_load_dwordx2 s[4:5], s[4:5], 0x8
                                        ; implicit-def: $vgpr12_vgpr13
                                        ; implicit-def: $vgpr68_vgpr69
                                        ; implicit-def: $vgpr72_vgpr73
                                        ; implicit-def: $vgpr64_vgpr65
                                        ; implicit-def: $vgpr60_vgpr61
                                        ; implicit-def: $vgpr24_vgpr25
                                        ; implicit-def: $vgpr20_vgpr21
                                        ; implicit-def: $vgpr16_vgpr17
                                        ; implicit-def: $vgpr8_vgpr9
                                        ; implicit-def: $vgpr4_vgpr5
                                        ; implicit-def: $vgpr0_vgpr1
	s_and_saveexec_b32 s0, vcc_lo
	s_cbranch_execz .LBB0_5
; %bb.4:
	ds_read_b128 v[12:15], v190 offset:1584
	ds_read_b128 v[68:71], v190 offset:4176
	ds_read_b128 v[72:75], v190 offset:6768
	ds_read_b128 v[64:67], v190 offset:9360
	ds_read_b128 v[60:63], v190 offset:11952
	ds_read_b128 v[24:27], v190 offset:14544
	ds_read_b128 v[20:23], v190 offset:17136
	ds_read_b128 v[16:19], v190 offset:19728
	ds_read_b128 v[8:11], v190 offset:22320
	ds_read_b128 v[4:7], v190 offset:24912
	ds_read_b128 v[0:3], v190 offset:27504
.LBB0_5:
	s_or_b32 exec_lo, exec_lo, s0
	s_waitcnt lgkmcnt(0)
	v_add_f64 v[90:91], v[28:29], v[40:41]
	v_add_f64 v[92:93], v[30:31], v[42:43]
	v_add_f64 v[106:107], v[42:43], -v[34:35]
	v_add_f64 v[98:99], v[52:53], -v[48:49]
	s_mov_b32 s22, 0xf8bb580b
	s_mov_b32 s24, 0x8eee2c13
	;; [unrolled: 1-line block ×10, first 2 shown]
	v_add_f64 v[100:101], v[54:55], -v[50:51]
	v_add_f64 v[102:103], v[44:45], -v[36:37]
	;; [unrolled: 1-line block ×3, first 2 shown]
	s_mov_b32 s0, 0x8764f0ba
	s_mov_b32 s16, 0xd9c712b6
	;; [unrolled: 1-line block ×5, first 2 shown]
	v_add_f64 v[90:91], v[90:91], v[44:45]
	v_add_f64 v[92:93], v[92:93], v[46:47]
	v_mul_f64 v[108:109], v[106:107], s[20:21]
	s_mov_b32 s1, 0x3feaeb8c
	s_mov_b32 s17, 0x3fda9628
	;; [unrolled: 1-line block ×5, first 2 shown]
	v_add_f64 v[42:43], v[42:43], v[34:35]
	s_mov_b32 s37, 0x3fd207e7
	s_mov_b32 s36, s26
	;; [unrolled: 1-line block ×8, first 2 shown]
	v_add_f64 v[148:149], v[70:71], -v[2:3]
	v_add_f64 v[160:161], v[68:69], -v[0:1]
	v_add_f64 v[156:157], v[68:69], v[0:1]
	v_add_f64 v[166:167], v[70:71], v[2:3]
	v_add_f64 v[140:141], v[24:25], -v[20:21]
	v_add_f64 v[90:91], v[90:91], v[52:53]
	v_add_f64 v[92:93], v[92:93], v[54:55]
	v_mov_b32_e32 v193, 4
	v_mul_f64 v[162:163], v[148:149], s[22:23]
	v_mul_f64 v[168:169], v[160:161], s[22:23]
	;; [unrolled: 1-line block ×5, first 2 shown]
	v_add_f64 v[90:91], v[90:91], v[56:57]
	v_add_f64 v[92:93], v[92:93], v[58:59]
	v_mul_f64 v[184:185], v[160:161], s[6:7]
	v_mul_f64 v[186:187], v[148:149], s[20:21]
	;; [unrolled: 1-line block ×3, first 2 shown]
	v_add_f64 v[90:91], v[90:91], v[80:81]
	v_add_f64 v[92:93], v[92:93], v[82:83]
	;; [unrolled: 1-line block ×6, first 2 shown]
	v_add_f64 v[92:93], v[82:83], -v[86:87]
	v_add_f64 v[82:83], v[82:83], v[86:87]
	v_add_f64 v[86:87], v[58:59], v[78:79]
	v_add_f64 v[78:79], v[58:59], -v[78:79]
	v_add_f64 v[58:59], v[52:53], v[48:49]
	v_add_f64 v[90:91], v[80:81], -v[84:85]
	v_add_f64 v[80:81], v[80:81], v[84:85]
	v_add_f64 v[84:85], v[56:57], v[76:77]
	v_add_f64 v[76:77], v[56:57], -v[76:77]
	v_add_f64 v[56:57], v[54:55], v[50:51]
	v_add_f64 v[54:55], v[44:45], v[36:37]
	;; [unrolled: 1-line block ×3, first 2 shown]
	v_add_f64 v[44:45], v[40:41], -v[32:33]
	v_add_f64 v[40:41], v[40:41], v[32:33]
	v_mul_f64 v[46:47], v[106:107], s[22:23]
	v_add_f64 v[48:49], v[94:95], v[48:49]
	v_add_f64 v[50:51], v[96:97], v[50:51]
	v_mul_f64 v[94:95], v[106:107], s[24:25]
	v_mul_f64 v[96:97], v[106:107], s[6:7]
	;; [unrolled: 1-line block ×6, first 2 shown]
	v_fma_f64 v[114:115], v[40:41], s[0:1], -v[46:47]
	v_fma_f64 v[46:47], v[40:41], s[0:1], v[46:47]
	v_add_f64 v[36:37], v[48:49], v[36:37]
	v_mul_f64 v[48:49], v[106:107], s[26:27]
	v_add_f64 v[38:39], v[50:51], v[38:39]
	v_mul_f64 v[50:51], v[44:45], s[24:25]
	v_mul_f64 v[106:107], v[44:45], s[6:7]
	;; [unrolled: 1-line block ×3, first 2 shown]
	v_fma_f64 v[116:117], v[40:41], s[16:17], -v[94:95]
	v_fma_f64 v[94:95], v[40:41], s[16:17], v[94:95]
	v_fma_f64 v[118:119], v[40:41], s[12:13], -v[96:97]
	v_fma_f64 v[96:97], v[40:41], s[12:13], v[96:97]
	v_fma_f64 v[120:121], v[42:43], s[0:1], v[110:111]
	;; [unrolled: 1-line block ×3, first 2 shown]
	v_fma_f64 v[112:113], v[42:43], s[18:19], -v[112:113]
	v_add_f64 v[46:47], v[28:29], v[46:47]
	v_add_f64 v[32:33], v[36:37], v[32:33]
	v_fma_f64 v[36:37], v[40:41], s[18:19], -v[108:109]
	v_fma_f64 v[108:109], v[40:41], s[18:19], v[108:109]
	v_fma_f64 v[122:123], v[40:41], s[14:15], -v[48:49]
	v_fma_f64 v[40:41], v[40:41], s[14:15], v[48:49]
	v_add_f64 v[34:35], v[38:39], v[34:35]
	v_fma_f64 v[38:39], v[42:43], s[0:1], -v[110:111]
	v_fma_f64 v[110:111], v[42:43], s[16:17], v[50:51]
	v_fma_f64 v[50:51], v[42:43], s[16:17], -v[50:51]
	v_fma_f64 v[48:49], v[42:43], s[12:13], v[106:107]
	;; [unrolled: 2-line block ×3, first 2 shown]
	v_fma_f64 v[42:43], v[42:43], s[14:15], -v[44:45]
	v_add_f64 v[44:45], v[28:29], v[114:115]
	v_add_f64 v[116:117], v[28:29], v[116:117]
	;; [unrolled: 1-line block ×12, first 2 shown]
	v_mul_f64 v[28:29], v[104:105], s[24:25]
	v_add_f64 v[120:121], v[30:31], v[38:39]
	v_add_f64 v[110:111], v[30:31], v[110:111]
	;; [unrolled: 1-line block ×7, first 2 shown]
	v_mul_f64 v[40:41], v[102:103], s[24:25]
	v_mul_f64 v[42:43], v[100:101], s[6:7]
	v_fma_f64 v[30:31], v[54:55], s[16:17], -v[28:29]
	v_fma_f64 v[28:29], v[54:55], s[16:17], v[28:29]
	v_fma_f64 v[36:37], v[52:53], s[16:17], v[40:41]
	v_fma_f64 v[38:39], v[58:59], s[12:13], -v[42:43]
	v_fma_f64 v[40:41], v[52:53], s[16:17], -v[40:41]
	v_fma_f64 v[42:43], v[58:59], s[12:13], v[42:43]
	v_add_f64 v[30:31], v[30:31], v[44:45]
	v_mul_f64 v[44:45], v[98:99], s[6:7]
	v_add_f64 v[28:29], v[28:29], v[46:47]
	v_add_f64 v[36:37], v[36:37], v[114:115]
	v_mul_f64 v[114:115], v[78:79], s[20:21]
	v_add_f64 v[40:41], v[40:41], v[120:121]
	v_mul_f64 v[120:121], v[78:79], s[34:35]
	v_add_f64 v[30:31], v[38:39], v[30:31]
	v_fma_f64 v[38:39], v[56:57], s[12:13], v[44:45]
	v_add_f64 v[28:29], v[42:43], v[28:29]
	v_fma_f64 v[42:43], v[56:57], s[12:13], -v[44:45]
	v_add_f64 v[36:37], v[38:39], v[36:37]
	v_fma_f64 v[38:39], v[84:85], s[18:19], -v[114:115]
	v_add_f64 v[40:41], v[42:43], v[40:41]
	v_fma_f64 v[42:43], v[84:85], s[18:19], v[114:115]
	v_mul_f64 v[114:115], v[102:103], s[20:21]
	v_add_f64 v[30:31], v[38:39], v[30:31]
	v_fma_f64 v[38:39], v[86:87], s[18:19], v[134:135]
	v_add_f64 v[28:29], v[42:43], v[28:29]
	v_fma_f64 v[42:43], v[86:87], s[18:19], -v[134:135]
	v_fma_f64 v[44:45], v[52:53], s[18:19], v[114:115]
	v_fma_f64 v[114:115], v[52:53], s[18:19], -v[114:115]
	v_mul_f64 v[134:135], v[76:77], s[34:35]
	v_add_f64 v[38:39], v[38:39], v[36:37]
	v_fma_f64 v[36:37], v[80:81], s[14:15], -v[136:137]
	v_add_f64 v[40:41], v[42:43], v[40:41]
	v_fma_f64 v[42:43], v[80:81], s[14:15], v[136:137]
	v_add_f64 v[44:45], v[44:45], v[110:111]
	v_mul_f64 v[110:111], v[100:101], s[36:37]
	v_add_f64 v[50:51], v[114:115], v[50:51]
	v_mul_f64 v[136:137], v[92:93], s[28:29]
	v_mul_f64 v[114:115], v[102:103], s[36:37]
	v_add_f64 v[36:37], v[36:37], v[30:31]
	v_mul_f64 v[30:31], v[90:91], s[26:27]
	v_add_f64 v[28:29], v[42:43], v[28:29]
	v_fma_f64 v[46:47], v[58:59], s[14:15], -v[110:111]
	v_fma_f64 v[110:111], v[58:59], s[14:15], v[110:111]
	v_fma_f64 v[138:139], v[82:83], s[14:15], v[30:31]
	v_fma_f64 v[30:31], v[82:83], s[14:15], -v[30:31]
	v_add_f64 v[38:39], v[138:139], v[38:39]
	v_add_f64 v[30:31], v[30:31], v[40:41]
	v_mul_f64 v[40:41], v[104:105], s[20:21]
	v_fma_f64 v[42:43], v[54:55], s[18:19], -v[40:41]
	v_fma_f64 v[40:41], v[54:55], s[18:19], v[40:41]
	v_add_f64 v[42:43], v[42:43], v[116:117]
	v_mul_f64 v[116:117], v[98:99], s[36:37]
	v_add_f64 v[40:41], v[40:41], v[128:129]
	v_add_f64 v[42:43], v[46:47], v[42:43]
	v_fma_f64 v[46:47], v[56:57], s[14:15], v[116:117]
	v_add_f64 v[40:41], v[110:111], v[40:41]
	v_fma_f64 v[110:111], v[56:57], s[14:15], -v[116:117]
	v_fma_f64 v[116:117], v[52:53], s[14:15], v[114:115]
	v_fma_f64 v[114:115], v[52:53], s[14:15], -v[114:115]
	v_add_f64 v[44:45], v[46:47], v[44:45]
	v_fma_f64 v[46:47], v[84:85], s[12:13], -v[120:121]
	v_add_f64 v[50:51], v[110:111], v[50:51]
	v_fma_f64 v[110:111], v[84:85], s[12:13], v[120:121]
	v_add_f64 v[48:49], v[116:117], v[48:49]
	v_mul_f64 v[116:117], v[100:101], s[30:31]
	v_add_f64 v[106:107], v[114:115], v[106:107]
	v_add_f64 v[42:43], v[46:47], v[42:43]
	v_fma_f64 v[46:47], v[86:87], s[12:13], v[134:135]
	v_add_f64 v[40:41], v[110:111], v[40:41]
	v_fma_f64 v[110:111], v[86:87], s[12:13], -v[134:135]
	v_fma_f64 v[114:115], v[58:59], s[16:17], v[116:117]
	v_add_f64 v[46:47], v[46:47], v[44:45]
	v_fma_f64 v[44:45], v[80:81], s[0:1], -v[136:137]
	v_add_f64 v[50:51], v[110:111], v[50:51]
	v_fma_f64 v[110:111], v[80:81], s[0:1], v[136:137]
	v_mul_f64 v[136:137], v[92:93], s[20:21]
	v_add_f64 v[44:45], v[44:45], v[42:43]
	v_mul_f64 v[42:43], v[90:91], s[28:29]
	v_add_f64 v[40:41], v[110:111], v[40:41]
	v_mul_f64 v[110:111], v[104:105], s[36:37]
	v_fma_f64 v[138:139], v[82:83], s[0:1], v[42:43]
	v_fma_f64 v[42:43], v[82:83], s[0:1], -v[42:43]
	v_add_f64 v[46:47], v[138:139], v[46:47]
	v_add_f64 v[42:43], v[42:43], v[50:51]
	v_fma_f64 v[50:51], v[54:55], s[14:15], -v[110:111]
	v_fma_f64 v[110:111], v[54:55], s[14:15], v[110:111]
	v_mul_f64 v[138:139], v[90:91], s[20:21]
	v_add_f64 v[50:51], v[50:51], v[118:119]
	v_fma_f64 v[118:119], v[58:59], s[16:17], -v[116:117]
	v_add_f64 v[110:111], v[110:111], v[130:131]
	v_fma_f64 v[116:117], v[82:83], s[18:19], -v[138:139]
	v_add_f64 v[50:51], v[118:119], v[50:51]
	v_mul_f64 v[118:119], v[98:99], s[30:31]
	v_add_f64 v[110:111], v[114:115], v[110:111]
	v_fma_f64 v[120:121], v[56:57], s[16:17], v[118:119]
	v_fma_f64 v[114:115], v[56:57], s[16:17], -v[118:119]
	v_mul_f64 v[118:119], v[100:101], s[22:23]
	v_mul_f64 v[100:101], v[100:101], s[20:21]
	v_add_f64 v[48:49], v[120:121], v[48:49]
	v_mul_f64 v[120:121], v[78:79], s[22:23]
	v_add_f64 v[106:107], v[114:115], v[106:107]
	v_fma_f64 v[128:129], v[84:85], s[0:1], -v[120:121]
	v_fma_f64 v[114:115], v[84:85], s[0:1], v[120:121]
	v_fma_f64 v[120:121], v[58:59], s[0:1], -v[118:119]
	v_add_f64 v[50:51], v[128:129], v[50:51]
	v_mul_f64 v[128:129], v[76:77], s[22:23]
	v_add_f64 v[110:111], v[114:115], v[110:111]
	v_fma_f64 v[114:115], v[86:87], s[0:1], -v[128:129]
	v_fma_f64 v[134:135], v[86:87], s[0:1], v[128:129]
	v_add_f64 v[106:107], v[114:115], v[106:107]
	v_fma_f64 v[114:115], v[80:81], s[18:19], v[136:137]
	v_add_f64 v[134:135], v[134:135], v[48:49]
	v_fma_f64 v[48:49], v[80:81], s[18:19], -v[136:137]
	v_add_f64 v[196:197], v[116:117], v[106:107]
	v_mul_f64 v[106:107], v[104:105], s[34:35]
	v_add_f64 v[194:195], v[114:115], v[110:111]
	v_mul_f64 v[114:115], v[102:103], s[34:35]
	v_mul_f64 v[104:105], v[104:105], s[28:29]
	;; [unrolled: 1-line block ×3, first 2 shown]
	v_add_f64 v[48:49], v[48:49], v[50:51]
	v_fma_f64 v[50:51], v[82:83], s[18:19], v[138:139]
	v_fma_f64 v[110:111], v[54:55], s[12:13], -v[106:107]
	v_fma_f64 v[106:107], v[54:55], s[12:13], v[106:107]
	v_fma_f64 v[116:117], v[52:53], s[12:13], v[114:115]
	v_add_f64 v[50:51], v[50:51], v[134:135]
	v_add_f64 v[134:135], v[60:61], -v[16:17]
	v_add_f64 v[110:111], v[110:111], v[132:133]
	v_add_f64 v[106:107], v[106:107], v[108:109]
	v_fma_f64 v[108:109], v[52:53], s[12:13], -v[114:115]
	v_add_f64 v[116:117], v[116:117], v[124:125]
	v_fma_f64 v[114:115], v[52:53], s[0:1], v[102:103]
	v_fma_f64 v[52:53], v[52:53], s[0:1], -v[102:103]
	v_mul_f64 v[102:103], v[90:91], s[30:31]
	v_mul_f64 v[90:91], v[90:91], s[6:7]
	v_add_f64 v[110:111], v[120:121], v[110:111]
	v_mul_f64 v[120:121], v[98:99], s[22:23]
	v_add_f64 v[108:109], v[108:109], v[112:113]
	v_fma_f64 v[112:113], v[58:59], s[0:1], v[118:119]
	v_fma_f64 v[118:119], v[58:59], s[18:19], -v[100:101]
	v_mul_f64 v[98:99], v[98:99], s[20:21]
	v_add_f64 v[114:115], v[114:115], v[126:127]
	v_add_f64 v[52:53], v[52:53], v[94:95]
	v_fma_f64 v[94:95], v[82:83], s[16:17], v[102:103]
	v_fma_f64 v[58:59], v[58:59], s[18:19], v[100:101]
	v_fma_f64 v[102:103], v[82:83], s[16:17], -v[102:103]
	v_fma_f64 v[124:125], v[56:57], s[0:1], v[120:121]
	v_add_f64 v[106:107], v[112:113], v[106:107]
	v_fma_f64 v[112:113], v[56:57], s[0:1], -v[120:121]
	v_add_f64 v[116:117], v[124:125], v[116:117]
	v_mul_f64 v[124:125], v[78:79], s[26:27]
	v_mul_f64 v[78:79], v[78:79], s[30:31]
	v_add_f64 v[108:109], v[112:113], v[108:109]
	v_fma_f64 v[112:113], v[84:85], s[14:15], v[124:125]
	v_fma_f64 v[128:129], v[84:85], s[14:15], -v[124:125]
	v_fma_f64 v[100:101], v[84:85], s[16:17], -v[78:79]
	v_add_f64 v[124:125], v[64:65], -v[8:9]
	v_add_f64 v[106:107], v[112:113], v[106:107]
	v_fma_f64 v[112:113], v[54:55], s[0:1], -v[104:105]
	v_add_f64 v[110:111], v[128:129], v[110:111]
	v_mul_f64 v[128:129], v[76:77], s[26:27]
	v_fma_f64 v[54:55], v[54:55], s[0:1], v[104:105]
	v_mul_f64 v[104:105], v[92:93], s[30:31]
	v_mul_f64 v[76:77], v[76:77], s[30:31]
	;; [unrolled: 1-line block ×4, first 2 shown]
	v_add_f64 v[112:113], v[112:113], v[122:123]
	v_fma_f64 v[130:131], v[86:87], s[14:15], v[128:129]
	v_add_f64 v[54:55], v[54:55], v[96:97]
	v_fma_f64 v[96:97], v[80:81], s[16:17], -v[104:105]
	v_add_f64 v[112:113], v[118:119], v[112:113]
	v_fma_f64 v[118:119], v[56:57], s[18:19], v[98:99]
	v_add_f64 v[116:117], v[130:131], v[116:117]
	v_fma_f64 v[56:57], v[56:57], s[18:19], -v[98:99]
	v_fma_f64 v[98:99], v[86:87], s[16:17], v[76:77]
	v_add_f64 v[198:199], v[96:97], v[110:111]
	v_fma_f64 v[96:97], v[80:81], s[16:17], v[104:105]
	v_fma_f64 v[104:105], v[80:81], s[12:13], -v[92:93]
	v_add_f64 v[54:55], v[58:59], v[54:55]
	v_fma_f64 v[58:59], v[86:87], s[16:17], -v[76:77]
	v_fma_f64 v[76:77], v[156:157], s[0:1], v[162:163]
	v_mul_f64 v[110:111], v[124:125], s[6:7]
	v_mul_f64 v[130:131], v[124:125], s[36:37]
	v_add_f64 v[100:101], v[100:101], v[112:113]
	v_add_f64 v[114:115], v[118:119], v[114:115]
	v_fma_f64 v[118:119], v[86:87], s[14:15], -v[128:129]
	v_add_f64 v[200:201], v[94:95], v[116:117]
	v_add_f64 v[52:53], v[56:57], v[52:53]
	v_fma_f64 v[56:57], v[84:85], s[16:17], v[78:79]
	v_add_f64 v[86:87], v[74:75], -v[6:7]
	v_fma_f64 v[78:79], v[166:167], s[0:1], -v[168:169]
	v_add_f64 v[202:203], v[96:97], v[106:107]
	v_add_f64 v[206:207], v[104:105], v[100:101]
	;; [unrolled: 1-line block ×4, first 2 shown]
	v_add_f64 v[118:119], v[72:73], -v[4:5]
	v_add_f64 v[52:53], v[58:59], v[52:53]
	v_add_f64 v[54:55], v[56:57], v[54:55]
	v_fma_f64 v[56:57], v[80:81], s[12:13], v[92:93]
	v_fma_f64 v[58:59], v[82:83], s[12:13], -v[90:91]
	v_mul_f64 v[104:105], v[86:87], s[24:25]
	v_add_f64 v[114:115], v[74:75], v[6:7]
	v_fma_f64 v[108:109], v[82:83], s[12:13], v[90:91]
	v_add_f64 v[92:93], v[64:65], v[8:9]
	v_add_f64 v[90:91], v[62:63], -v[18:19]
	v_add_f64 v[82:83], v[60:61], v[16:17]
	v_mul_f64 v[100:101], v[134:135], s[20:21]
	v_mul_f64 v[132:133], v[86:87], s[20:21]
	;; [unrolled: 1-line block ×4, first 2 shown]
	v_add_f64 v[204:205], v[102:103], v[94:95]
	v_add_f64 v[102:103], v[72:73], v[4:5]
	v_mul_f64 v[116:117], v[118:119], s[24:25]
	v_add_f64 v[94:95], v[66:67], -v[10:11]
	v_add_f64 v[210:211], v[56:57], v[54:55]
	v_add_f64 v[212:213], v[58:59], v[52:53]
	v_add_f64 v[52:53], v[12:13], v[76:77]
	v_add_f64 v[56:57], v[14:15], v[78:79]
	v_add_f64 v[208:209], v[108:109], v[98:99]
	v_add_f64 v[108:109], v[66:67], v[10:11]
	v_mul_f64 v[84:85], v[90:91], s[20:21]
	v_add_f64 v[98:99], v[62:63], v[18:19]
	v_add_f64 v[76:77], v[26:27], -v[22:23]
	v_mul_f64 v[136:137], v[118:119], s[20:21]
	v_mul_f64 v[154:155], v[118:119], s[36:37]
	;; [unrolled: 1-line block ×4, first 2 shown]
	v_fma_f64 v[54:55], v[102:103], s[16:17], v[104:105]
	v_fma_f64 v[58:59], v[114:115], s[16:17], -v[116:117]
	v_mul_f64 v[96:97], v[94:95], s[6:7]
	v_mul_f64 v[128:129], v[94:95], s[36:37]
	;; [unrolled: 1-line block ×3, first 2 shown]
	v_fma_f64 v[106:107], v[114:115], s[18:19], -v[136:137]
	v_fma_f64 v[126:127], v[114:115], s[14:15], -v[154:155]
	;; [unrolled: 1-line block ×3, first 2 shown]
	v_add_f64 v[52:53], v[54:55], v[52:53]
	v_add_f64 v[54:55], v[58:59], v[56:57]
	v_fma_f64 v[56:57], v[92:93], s[12:13], v[96:97]
	v_add_f64 v[52:53], v[56:57], v[52:53]
	v_fma_f64 v[56:57], v[108:109], s[12:13], -v[110:111]
	v_add_f64 v[54:55], v[56:57], v[54:55]
	v_fma_f64 v[56:57], v[82:83], s[18:19], v[84:85]
	v_add_f64 v[56:57], v[56:57], v[52:53]
	v_fma_f64 v[52:53], v[98:99], s[18:19], -v[100:101]
	v_add_f64 v[78:79], v[52:53], v[54:55]
	v_add_f64 v[52:53], v[24:25], v[20:21]
	v_mul_f64 v[54:55], v[76:77], s[26:27]
	v_fma_f64 v[58:59], v[52:53], s[14:15], v[54:55]
	v_add_f64 v[120:121], v[58:59], v[56:57]
	v_add_f64 v[58:59], v[26:27], v[22:23]
	v_mul_f64 v[56:57], v[140:141], s[26:27]
	v_fma_f64 v[80:81], v[58:59], s[14:15], -v[56:57]
	v_add_f64 v[122:123], v[80:81], v[78:79]
	v_fma_f64 v[78:79], v[156:157], s[16:17], v[178:179]
	v_fma_f64 v[80:81], v[102:103], s[18:19], v[132:133]
	buffer_store_dword v120, off, s[40:43], 0 ; 4-byte Folded Spill
	buffer_store_dword v121, off, s[40:43], 0 offset:4 ; 4-byte Folded Spill
	buffer_store_dword v122, off, s[40:43], 0 offset:8 ; 4-byte Folded Spill
	;; [unrolled: 1-line block ×3, first 2 shown]
	v_add_f64 v[78:79], v[12:13], v[78:79]
	v_mul_f64 v[120:121], v[90:91], s[34:35]
	v_mul_f64 v[122:123], v[134:135], s[34:35]
	v_add_f64 v[78:79], v[80:81], v[78:79]
	v_fma_f64 v[80:81], v[166:167], s[16:17], -v[180:181]
	v_add_f64 v[80:81], v[14:15], v[80:81]
	v_add_f64 v[80:81], v[106:107], v[80:81]
	v_fma_f64 v[106:107], v[92:93], s[14:15], v[128:129]
	v_add_f64 v[78:79], v[106:107], v[78:79]
	v_fma_f64 v[106:107], v[108:109], s[14:15], -v[130:131]
	v_add_f64 v[80:81], v[106:107], v[80:81]
	v_fma_f64 v[106:107], v[82:83], s[12:13], v[120:121]
	v_add_f64 v[106:107], v[106:107], v[78:79]
	v_fma_f64 v[78:79], v[98:99], s[12:13], -v[122:123]
	v_add_f64 v[112:113], v[78:79], v[80:81]
	v_mul_f64 v[78:79], v[76:77], s[28:29]
	v_fma_f64 v[80:81], v[52:53], s[0:1], v[78:79]
	v_add_f64 v[142:143], v[80:81], v[106:107]
	v_mul_f64 v[80:81], v[140:141], s[28:29]
	v_fma_f64 v[106:107], v[58:59], s[0:1], -v[80:81]
	v_add_f64 v[144:145], v[106:107], v[112:113]
	v_fma_f64 v[106:107], v[156:157], s[12:13], v[182:183]
	v_fma_f64 v[112:113], v[102:103], s[14:15], v[152:153]
	buffer_store_dword v142, off, s[40:43], 0 offset:16 ; 4-byte Folded Spill
	buffer_store_dword v143, off, s[40:43], 0 offset:20 ; 4-byte Folded Spill
	;; [unrolled: 1-line block ×4, first 2 shown]
	v_add_f64 v[106:107], v[12:13], v[106:107]
	v_mul_f64 v[142:143], v[134:135], s[22:23]
	v_add_f64 v[106:107], v[112:113], v[106:107]
	v_fma_f64 v[112:113], v[166:167], s[12:13], -v[184:185]
	v_add_f64 v[112:113], v[14:15], v[112:113]
	v_add_f64 v[112:113], v[126:127], v[112:113]
	v_fma_f64 v[126:127], v[92:93], s[16:17], v[146:147]
	v_add_f64 v[106:107], v[126:127], v[106:107]
	v_fma_f64 v[126:127], v[108:109], s[16:17], -v[150:151]
	v_add_f64 v[112:113], v[126:127], v[112:113]
	v_fma_f64 v[126:127], v[82:83], s[0:1], v[138:139]
	v_add_f64 v[126:127], v[126:127], v[106:107]
	v_fma_f64 v[106:107], v[98:99], s[0:1], -v[142:143]
	v_add_f64 v[144:145], v[106:107], v[112:113]
	v_mul_f64 v[106:107], v[76:77], s[20:21]
	v_fma_f64 v[112:113], v[52:53], s[18:19], v[106:107]
	v_add_f64 v[170:171], v[112:113], v[126:127]
	v_mul_f64 v[112:113], v[140:141], s[20:21]
	v_fma_f64 v[126:127], v[58:59], s[18:19], -v[112:113]
	v_add_f64 v[172:173], v[126:127], v[144:145]
	v_fma_f64 v[126:127], v[156:157], s[18:19], v[186:187]
	v_fma_f64 v[144:145], v[102:103], s[12:13], v[174:175]
	buffer_store_dword v170, off, s[40:43], 0 offset:32 ; 4-byte Folded Spill
	buffer_store_dword v171, off, s[40:43], 0 offset:36 ; 4-byte Folded Spill
	buffer_store_dword v172, off, s[40:43], 0 offset:40 ; 4-byte Folded Spill
	buffer_store_dword v173, off, s[40:43], 0 offset:44 ; 4-byte Folded Spill
	v_add_f64 v[126:127], v[12:13], v[126:127]
	v_mul_f64 v[170:171], v[94:95], s[22:23]
	v_mul_f64 v[172:173], v[124:125], s[22:23]
	v_add_f64 v[126:127], v[144:145], v[126:127]
	v_fma_f64 v[144:145], v[166:167], s[18:19], -v[188:189]
	v_add_f64 v[144:145], v[14:15], v[144:145]
	v_add_f64 v[144:145], v[158:159], v[144:145]
	v_fma_f64 v[158:159], v[92:93], s[0:1], v[170:171]
	v_add_f64 v[126:127], v[158:159], v[126:127]
	v_fma_f64 v[158:159], v[108:109], s[0:1], -v[172:173]
	v_add_f64 v[144:145], v[158:159], v[144:145]
	v_mul_f64 v[158:159], v[90:91], s[26:27]
	v_fma_f64 v[164:165], v[82:83], s[14:15], v[158:159]
	v_add_f64 v[191:192], v[164:165], v[126:127]
	v_mul_f64 v[164:165], v[134:135], s[26:27]
	v_fma_f64 v[126:127], v[98:99], s[14:15], -v[164:165]
	v_add_f64 v[214:215], v[126:127], v[144:145]
	v_mul_f64 v[126:127], v[76:77], s[30:31]
	v_fma_f64 v[144:145], v[52:53], s[16:17], v[126:127]
	v_add_f64 v[217:218], v[144:145], v[191:192]
	v_mul_f64 v[144:145], v[140:141], s[30:31]
	v_fma_f64 v[191:192], v[58:59], s[16:17], -v[144:145]
	v_add_f64 v[219:220], v[191:192], v[214:215]
	v_mul_lo_u16 v191, v216, 11
	v_add_co_u32 v192, s33, 0x63, v216
	buffer_store_dword v217, off, s[40:43], 0 offset:48 ; 4-byte Folded Spill
	buffer_store_dword v218, off, s[40:43], 0 offset:52 ; 4-byte Folded Spill
	;; [unrolled: 1-line block ×4, first 2 shown]
	v_lshlrev_b32_sdwa v191, v193, v191 dst_sel:DWORD dst_unused:UNUSED_PAD src0_sel:DWORD src1_sel:WORD_0
	s_waitcnt_vscnt null, 0x0
	s_barrier
	buffer_gl0_inv
	ds_write_b128 v191, v[32:35]
	ds_write_b128 v191, v[36:39] offset:16
	ds_write_b128 v191, v[44:47] offset:32
	;; [unrolled: 1-line block ×10, first 2 shown]
	v_add_co_ci_u32_e64 v28, null, 0, 0, s33
	v_mul_u32_u24_e32 v28, 11, v192
	buffer_store_dword v28, off, s[40:43], 0 offset:756 ; 4-byte Folded Spill
	s_and_saveexec_b32 s33, vcc_lo
	s_cbranch_execz .LBB0_7
; %bb.6:
	v_add_f64 v[30:31], v[12:13], v[68:69]
	v_add_f64 v[28:29], v[14:15], v[70:71]
	v_mul_f64 v[32:33], v[166:167], s[16:17]
	v_mul_f64 v[34:35], v[166:167], s[0:1]
	;; [unrolled: 1-line block ×13, first 2 shown]
	v_add_f64 v[30:31], v[30:31], v[72:73]
	v_add_f64 v[28:29], v[28:29], v[74:75]
	;; [unrolled: 1-line block ×4, first 2 shown]
	v_add_f64 v[36:37], v[36:37], -v[162:163]
	v_add_f64 v[38:39], v[38:39], -v[178:179]
	;; [unrolled: 1-line block ×4, first 2 shown]
	v_mul_f64 v[72:73], v[114:115], s[18:19]
	v_fma_f64 v[46:47], v[156:157], s[14:15], v[44:45]
	v_fma_f64 v[44:45], v[156:157], s[14:15], -v[44:45]
	v_mul_f64 v[74:75], v[102:103], s[18:19]
	v_add_f64 v[68:69], v[154:155], v[68:69]
	v_add_f64 v[70:71], v[70:71], -v[152:153]
	v_add_f64 v[30:31], v[30:31], v[64:65]
	v_add_f64 v[28:29], v[28:29], v[66:67]
	v_mul_f64 v[64:65], v[114:115], s[12:13]
	v_add_f64 v[32:33], v[14:15], v[32:33]
	v_mul_f64 v[66:67], v[102:103], s[12:13]
	v_add_f64 v[72:73], v[136:137], v[72:73]
	v_add_f64 v[46:47], v[12:13], v[46:47]
	v_mul_f64 v[136:137], v[98:99], s[0:1]
	v_add_f64 v[74:75], v[74:75], -v[132:133]
	v_mul_f64 v[132:133], v[92:93], s[16:17]
	v_add_f64 v[30:31], v[30:31], v[60:61]
	v_add_f64 v[28:29], v[28:29], v[62:63]
	v_mul_f64 v[60:61], v[114:115], s[0:1]
	v_mul_f64 v[114:115], v[114:115], s[16:17]
	v_add_f64 v[64:65], v[176:177], v[64:65]
	v_add_f64 v[66:67], v[66:67], -v[174:175]
	v_add_f64 v[32:33], v[72:73], v[32:33]
	v_add_f64 v[136:137], v[142:143], v[136:137]
	v_add_f64 v[132:133], v[132:133], -v[146:147]
	v_add_f64 v[24:25], v[30:31], v[24:25]
	v_add_f64 v[26:27], v[28:29], v[26:27]
	v_mul_f64 v[28:29], v[166:167], s[18:19]
	v_mul_f64 v[30:31], v[166:167], s[12:13]
	v_add_f64 v[114:115], v[116:117], v[114:115]
	v_fma_f64 v[116:117], v[102:103], s[0:1], v[86:87]
	v_fma_f64 v[86:87], v[102:103], s[0:1], -v[86:87]
	v_mul_f64 v[102:103], v[102:103], s[16:17]
	v_fma_f64 v[62:63], v[118:119], s[22:23], v[60:61]
	v_fma_f64 v[60:61], v[118:119], s[28:29], v[60:61]
	v_mul_f64 v[118:119], v[92:93], s[0:1]
	v_add_f64 v[20:21], v[24:25], v[20:21]
	v_mul_f64 v[24:25], v[166:167], s[14:15]
	v_add_f64 v[22:23], v[26:27], v[22:23]
	v_add_f64 v[28:29], v[188:189], v[28:29]
	;; [unrolled: 1-line block ×4, first 2 shown]
	v_add_f64 v[102:103], v[102:103], -v[104:105]
	v_mul_f64 v[104:105], v[108:109], s[0:1]
	v_add_f64 v[118:119], v[118:119], -v[170:171]
	v_add_f64 v[16:17], v[20:21], v[16:17]
	v_fma_f64 v[26:27], v[160:161], s[36:37], v[24:25]
	v_fma_f64 v[24:25], v[160:161], s[26:27], v[24:25]
	v_add_f64 v[28:29], v[14:15], v[28:29]
	v_add_f64 v[30:31], v[14:15], v[30:31]
	v_mul_f64 v[20:21], v[58:59], s[12:13]
	v_add_f64 v[18:19], v[22:23], v[18:19]
	v_add_f64 v[104:105], v[172:173], v[104:105]
	;; [unrolled: 1-line block ×10, first 2 shown]
	v_mul_f64 v[42:43], v[98:99], s[16:17]
	v_add_f64 v[12:13], v[12:13], v[44:45]
	v_fma_f64 v[22:23], v[140:141], s[34:35], v[20:21]
	v_fma_f64 v[20:21], v[140:141], s[6:7], v[20:21]
	v_mul_f64 v[140:141], v[82:83], s[0:1]
	v_add_f64 v[28:29], v[64:65], v[28:29]
	v_add_f64 v[30:31], v[68:69], v[30:31]
	v_mul_f64 v[64:65], v[52:53], s[18:19]
	v_add_f64 v[10:11], v[18:19], v[10:11]
	v_mul_f64 v[68:69], v[52:53], s[0:1]
	v_add_f64 v[26:27], v[62:63], v[26:27]
	v_add_f64 v[24:25], v[60:61], v[24:25]
	;; [unrolled: 1-line block ×3, first 2 shown]
	v_mul_f64 v[60:61], v[58:59], s[16:17]
	v_mul_f64 v[62:63], v[58:59], s[18:19]
	v_add_f64 v[34:35], v[102:103], v[34:35]
	v_add_f64 v[40:41], v[66:67], v[40:41]
	v_fma_f64 v[44:45], v[134:135], s[24:25], v[42:43]
	s_mov_b32 s25, 0x3fe82f19
	s_mov_b32 s24, s20
	v_fma_f64 v[42:43], v[134:135], s[30:31], v[42:43]
	v_fma_f64 v[50:51], v[124:125], s[24:25], v[48:49]
	;; [unrolled: 1-line block ×3, first 2 shown]
	v_mul_f64 v[124:125], v[108:109], s[16:17]
	v_mul_f64 v[134:135], v[108:109], s[14:15]
	v_mul_f64 v[108:109], v[108:109], s[12:13]
	v_add_f64 v[138:139], v[140:141], -v[138:139]
	v_mul_f64 v[140:141], v[98:99], s[12:13]
	v_add_f64 v[28:29], v[104:105], v[28:29]
	v_mul_f64 v[66:67], v[58:59], s[0:1]
	v_add_f64 v[36:37], v[74:75], v[36:37]
	v_add_f64 v[38:39], v[70:71], v[38:39]
	v_add_f64 v[12:13], v[86:87], v[12:13]
	v_mul_f64 v[58:59], v[58:59], s[14:15]
	v_mul_f64 v[70:71], v[52:53], s[14:15]
	v_add_f64 v[60:61], v[144:145], v[60:61]
	v_add_f64 v[16:17], v[112:113], v[62:63]
	v_add_f64 v[62:63], v[64:65], -v[106:107]
	v_add_f64 v[40:41], v[118:119], v[40:41]
	v_add_f64 v[26:27], v[50:51], v[26:27]
	;; [unrolled: 1-line block ×5, first 2 shown]
	v_mul_f64 v[134:135], v[92:93], s[14:15]
	v_add_f64 v[108:109], v[110:111], v[108:109]
	v_fma_f64 v[110:111], v[92:93], s[18:19], v[94:95]
	v_fma_f64 v[94:95], v[92:93], s[18:19], -v[94:95]
	v_mul_f64 v[92:93], v[92:93], s[12:13]
	v_add_f64 v[122:123], v[122:123], v[140:141]
	v_add_f64 v[64:65], v[80:81], v[66:67]
	v_mul_f64 v[140:141], v[82:83], s[12:13]
	v_mul_f64 v[48:49], v[76:77], s[6:7]
	v_add_f64 v[38:39], v[132:133], v[38:39]
	v_mul_f64 v[50:51], v[52:53], s[16:17]
	v_add_f64 v[56:57], v[56:57], v[58:59]
	v_add_f64 v[66:67], v[68:69], -v[78:79]
	v_add_f64 v[18:19], v[44:45], v[26:27]
	v_add_f64 v[24:25], v[42:43], v[24:25]
	;; [unrolled: 1-line block ×4, first 2 shown]
	v_add_f64 v[128:129], v[134:135], -v[128:129]
	v_add_f64 v[14:15], v[108:109], v[14:15]
	v_add_f64 v[46:47], v[110:111], v[46:47]
	v_mul_f64 v[134:135], v[82:83], s[14:15]
	v_add_f64 v[92:93], v[92:93], -v[96:97]
	v_mul_f64 v[96:97], v[98:99], s[14:15]
	v_mul_f64 v[98:99], v[98:99], s[18:19]
	v_add_f64 v[120:121], v[140:141], -v[120:121]
	v_add_f64 v[12:13], v[94:95], v[12:13]
	v_fma_f64 v[72:73], v[52:53], s[12:13], v[48:49]
	v_fma_f64 v[48:49], v[52:53], s[12:13], -v[48:49]
	v_add_f64 v[52:53], v[70:71], -v[54:55]
	v_add_f64 v[38:39], v[138:139], v[38:39]
	v_add_f64 v[50:51], v[50:51], -v[126:127]
	v_add_f64 v[54:55], v[8:9], v[4:5]
	v_add_f64 v[30:31], v[136:137], v[30:31]
	;; [unrolled: 1-line block ×4, first 2 shown]
	v_add_f64 v[134:135], v[134:135], -v[158:159]
	v_add_f64 v[34:35], v[92:93], v[34:35]
	v_add_f64 v[96:97], v[164:165], v[96:97]
	v_add_f64 v[98:99], v[100:101], v[98:99]
	v_fma_f64 v[100:101], v[82:83], s[16:17], v[90:91]
	v_fma_f64 v[90:91], v[82:83], s[16:17], -v[90:91]
	v_mul_f64 v[82:83], v[82:83], s[18:19]
	v_add_f64 v[0:1], v[54:55], v[0:1]
	v_add_f64 v[36:37], v[120:121], v[36:37]
	;; [unrolled: 1-line block ×10, first 2 shown]
	v_add_f64 v[82:83], v[82:83], -v[84:85]
	v_add_f64 v[44:45], v[90:91], v[12:13]
	v_add_f64 v[10:11], v[20:21], v[24:25]
	;; [unrolled: 1-line block ×6, first 2 shown]
	s_clause 0x3
	buffer_load_dword v29, off, s[40:43], 0 offset:48
	buffer_load_dword v30, off, s[40:43], 0 offset:52
	;; [unrolled: 1-line block ×4, first 2 shown]
	v_mul_u32_u24_e32 v28, 11, v192
	v_add_f64 v[4:5], v[72:73], v[26:27]
	v_add_f64 v[26:27], v[56:57], v[42:43]
	v_add_f64 v[2:3], v[46:47], v[2:3]
	v_lshlrev_b32_e32 v28, 4, v28
	v_add_f64 v[34:35], v[82:83], v[34:35]
	v_add_f64 v[8:9], v[48:49], v[44:45]
	;; [unrolled: 1-line block ×3, first 2 shown]
	s_waitcnt vmcnt(0)
	ds_write_b128 v28, v[29:32] offset:112
	s_clause 0x3
	buffer_load_dword v29, off, s[40:43], 0 offset:32
	buffer_load_dword v30, off, s[40:43], 0 offset:36
	;; [unrolled: 1-line block ×4, first 2 shown]
	s_waitcnt vmcnt(0)
	ds_write_b128 v28, v[29:32] offset:128
	s_clause 0x3
	buffer_load_dword v29, off, s[40:43], 0 offset:16
	buffer_load_dword v30, off, s[40:43], 0 offset:20
	buffer_load_dword v31, off, s[40:43], 0 offset:24
	buffer_load_dword v32, off, s[40:43], 0 offset:28
	s_waitcnt vmcnt(0)
	ds_write_b128 v28, v[29:32] offset:144
	ds_write_b128 v28, v[24:27] offset:16
	;; [unrolled: 1-line block ×7, first 2 shown]
	ds_write_b128 v28, v[0:3]
	s_clause 0x3
	buffer_load_dword v0, off, s[40:43], 0
	buffer_load_dword v1, off, s[40:43], 0 offset:4
	buffer_load_dword v2, off, s[40:43], 0 offset:8
	;; [unrolled: 1-line block ×3, first 2 shown]
	s_waitcnt vmcnt(0)
	ds_write_b128 v28, v[0:3] offset:160
.LBB0_7:
	s_or_b32 exec_lo, exec_lo, s33
	v_add_co_u32 v56, null, 0xc6, v216
	v_mov_b32_e32 v0, 0xba2f
	v_add_nc_u32_e32 v57, 0x129, v216
	s_waitcnt lgkmcnt(0)
	s_waitcnt_vscnt null, 0x0
	s_barrier
	buffer_gl0_inv
	v_mul_u32_u24_sdwa v1, v56, v0 dst_sel:DWORD dst_unused:UNUSED_PAD src0_sel:WORD_0 src1_sel:DWORD
	v_add_nc_u32_e32 v58, 0x18c, v216
	v_add_nc_u32_e32 v59, 0x1ef, v216
	v_and_b32_e32 v94, 0xff, v216
	v_and_b32_e32 v67, 0xff, v192
	v_lshrrev_b32_e32 v60, 19, v1
	v_mul_u32_u24_sdwa v1, v57, v0 dst_sel:DWORD dst_unused:UNUSED_PAD src0_sel:WORD_0 src1_sel:DWORD
	v_mul_u32_u24_sdwa v3, v58, v0 dst_sel:DWORD dst_unused:UNUSED_PAD src0_sel:WORD_0 src1_sel:DWORD
	;; [unrolled: 1-line block ×3, first 2 shown]
	s_mov_b32 s6, 0xe8584caa
	v_mul_lo_u16 v2, v60, 11
	v_lshrrev_b32_e32 v61, 19, v1
	v_lshrrev_b32_e32 v64, 19, v3
	;; [unrolled: 1-line block ×3, first 2 shown]
	s_mov_b32 s7, 0x3febb67a
	v_sub_nc_u16 v62, v56, v2
	v_mul_lo_u16 v1, v61, 11
	v_mul_lo_u16 v0, v64, 11
	;; [unrolled: 1-line block ×3, first 2 shown]
	s_mov_b32 s13, 0xbfebb67a
	v_lshlrev_b16 v2, 1, v62
	v_sub_nc_u16 v95, v57, v1
	v_sub_nc_u16 v65, v58, v0
	;; [unrolled: 1-line block ×3, first 2 shown]
	s_mov_b32 s12, s6
	v_lshlrev_b32_sdwa v1, v193, v2 dst_sel:DWORD dst_unused:UNUSED_PAD src0_sel:DWORD src1_sel:WORD_0
	v_mul_lo_u16 v2, 0x75, v94
	v_lshlrev_b16 v3, 1, v95
	v_lshlrev_b16 v4, 1, v66
	v_mad_u16 v62, v60, 33, v62
	s_clause 0x1
	global_load_dwordx4 v[52:55], v1, s[4:5]
	global_load_dwordx4 v[90:93], v1, s[4:5] offset:16
	v_lshrrev_b16 v2, 8, v2
	v_lshlrev_b16 v1, 1, v65
	v_lshlrev_b32_sdwa v3, v193, v3 dst_sel:DWORD dst_unused:UNUSED_PAD src0_sel:DWORD src1_sel:WORD_0
	v_mul_lo_u16 v60, 0xf9, v94
	v_mad_u16 v64, v64, 33, v65
	v_sub_nc_u16 v0, v216, v2
	v_lshlrev_b32_sdwa v1, v193, v1 dst_sel:DWORD dst_unused:UNUSED_PAD src0_sel:DWORD src1_sel:WORD_0
	s_clause 0x2
	global_load_dwordx4 v[82:85], v3, s[4:5]
	global_load_dwordx4 v[104:107], v3, s[4:5] offset:16
	global_load_dwordx4 v[78:81], v1, s[4:5]
	v_lshrrev_b16 v0, 1, v0
	global_load_dwordx4 v[74:77], v1, s[4:5] offset:16
	v_lshrrev_b16 v60, 13, v60
	v_mad_u16 v61, v61, 33, v95
	v_mad_u16 v63, v63, 33, v66
	v_and_b32_e32 v0, 0x7f, v0
	v_mul_lo_u16 v65, v60, 33
	v_add_nc_u16 v0, v0, v2
	v_lshlrev_b32_sdwa v2, v193, v4 dst_sel:DWORD dst_unused:UNUSED_PAD src0_sel:DWORD src1_sel:WORD_0
	v_sub_nc_u16 v65, v216, v65
	v_lshrrev_b16 v96, 3, v0
	s_clause 0x1
	global_load_dwordx4 v[70:73], v2, s[4:5]
	global_load_dwordx4 v[100:103], v2, s[4:5] offset:16
	v_mul_lo_u16 v0, v96, 11
	v_sub_nc_u16 v0, v216, v0
	v_and_b32_e32 v97, 0xff, v0
	v_mul_lo_u16 v0, 0x75, v67
	v_mul_lo_u16 v67, 0xf9, v67
	v_lshlrev_b32_e32 v1, 5, v97
	v_lshrrev_b16 v0, 8, v0
	s_clause 0x1
	global_load_dwordx4 v[116:119], v1, s[4:5]
	global_load_dwordx4 v[108:111], v1, s[4:5] offset:16
	v_sub_nc_u16 v2, v192, v0
	v_lshrrev_b16 v2, 1, v2
	v_and_b32_e32 v2, 0x7f, v2
	v_add_nc_u16 v0, v2, v0
	v_lshrrev_b16 v98, 3, v0
	v_mul_lo_u16 v0, v98, 11
	v_sub_nc_u16 v0, v192, v0
	v_and_b32_e32 v99, 0xff, v0
	v_lshlrev_b32_e32 v0, 5, v99
	s_clause 0x1
	global_load_dwordx4 v[112:115], v0, s[4:5]
	global_load_dwordx4 v[120:123], v0, s[4:5] offset:16
	ds_read_b128 v[0:3], v190 offset:12672
	ds_read_b128 v[4:7], v190 offset:22176
	;; [unrolled: 1-line block ×8, first 2 shown]
	s_waitcnt vmcnt(11) lgkmcnt(7)
	v_mul_f64 v[32:33], v[2:3], v[54:55]
	v_mul_f64 v[34:35], v[0:1], v[54:55]
	s_waitcnt vmcnt(10) lgkmcnt(6)
	v_mul_f64 v[36:37], v[6:7], v[92:93]
	v_mul_f64 v[38:39], v[4:5], v[92:93]
	;; [unrolled: 3-line block ×3, first 2 shown]
	s_waitcnt vmcnt(8) lgkmcnt(4)
	v_mul_f64 v[44:45], v[14:15], v[106:107]
	s_waitcnt vmcnt(7) lgkmcnt(3)
	v_mul_f64 v[48:49], v[18:19], v[80:81]
	v_mul_f64 v[46:47], v[12:13], v[106:107]
	;; [unrolled: 1-line block ×3, first 2 shown]
	v_fma_f64 v[32:33], v[0:1], v[52:53], -v[32:33]
	buffer_store_dword v52, off, s[40:43], 0 offset:420 ; 4-byte Folded Spill
	buffer_store_dword v53, off, s[40:43], 0 offset:424 ; 4-byte Folded Spill
	;; [unrolled: 1-line block ×4, first 2 shown]
	v_fma_f64 v[36:37], v[4:5], v[90:91], -v[36:37]
	buffer_store_dword v90, off, s[40:43], 0 offset:372 ; 4-byte Folded Spill
	buffer_store_dword v91, off, s[40:43], 0 offset:376 ; 4-byte Folded Spill
	;; [unrolled: 1-line block ×4, first 2 shown]
	s_waitcnt vmcnt(6) lgkmcnt(1)
	v_mul_f64 v[54:55], v[20:21], v[76:77]
	s_waitcnt vmcnt(5)
	v_mul_f64 v[68:69], v[26:27], v[72:73]
	v_fma_f64 v[40:41], v[8:9], v[82:83], -v[40:41]
	buffer_store_dword v82, off, s[40:43], 0 offset:356 ; 4-byte Folded Spill
	buffer_store_dword v83, off, s[40:43], 0 offset:360 ; 4-byte Folded Spill
	;; [unrolled: 1-line block ×4, first 2 shown]
	v_fma_f64 v[44:45], v[12:13], v[104:105], -v[44:45]
	v_mul_f64 v[8:9], v[24:25], v[72:73]
	v_fma_f64 v[48:49], v[16:17], v[78:79], -v[48:49]
	s_waitcnt vmcnt(4) lgkmcnt(0)
	v_mul_f64 v[12:13], v[30:31], v[102:103]
	v_fma_f64 v[68:69], v[24:25], v[70:71], -v[68:69]
	v_add_f64 v[24:25], v[40:41], -v[44:45]
	v_fma_f64 v[34:35], v[2:3], v[52:53], v[34:35]
	v_mul_f64 v[52:53], v[22:23], v[76:77]
	ds_read_b128 v[0:3], v190 offset:9504
	buffer_store_dword v104, off, s[40:43], 0 offset:404 ; 4-byte Folded Spill
	buffer_store_dword v105, off, s[40:43], 0 offset:408 ; 4-byte Folded Spill
	;; [unrolled: 1-line block ×4, first 2 shown]
	v_fma_f64 v[38:39], v[6:7], v[90:91], v[38:39]
	ds_read_b128 v[4:7], v190 offset:11088
	buffer_store_dword v78, off, s[40:43], 0 offset:340 ; 4-byte Folded Spill
	buffer_store_dword v79, off, s[40:43], 0 offset:344 ; 4-byte Folded Spill
	;; [unrolled: 1-line block ×4, first 2 shown]
	v_fma_f64 v[42:43], v[10:11], v[82:83], v[42:43]
	s_waitcnt vmcnt(3) lgkmcnt(1)
	v_mul_f64 v[16:17], v[2:3], v[118:119]
	v_fma_f64 v[52:53], v[20:21], v[74:75], -v[52:53]
	buffer_store_dword v74, off, s[40:43], 0 offset:324 ; 4-byte Folded Spill
	buffer_store_dword v75, off, s[40:43], 0 offset:328 ; 4-byte Folded Spill
	;; [unrolled: 1-line block ×8, first 2 shown]
	v_fma_f64 v[72:73], v[28:29], v[100:101], -v[12:13]
	v_fma_f64 v[76:77], v[0:1], v[116:117], -v[16:17]
	v_add_f64 v[16:17], v[32:33], -v[36:37]
	v_fma_f64 v[46:47], v[14:15], v[104:105], v[46:47]
	v_mul_f64 v[14:15], v[28:29], v[102:103]
	v_add_f64 v[28:29], v[48:49], v[52:53]
	v_fma_f64 v[50:51], v[18:19], v[78:79], v[50:51]
	v_mul_f64 v[18:19], v[0:1], v[118:119]
	v_fma_f64 v[54:55], v[22:23], v[74:75], v[54:55]
	v_fma_f64 v[70:71], v[26:27], v[70:71], v[8:9]
	ds_read_b128 v[8:11], v190 offset:19008
	buffer_store_dword v100, off, s[40:43], 0 offset:388 ; 4-byte Folded Spill
	buffer_store_dword v101, off, s[40:43], 0 offset:392 ; 4-byte Folded Spill
	;; [unrolled: 1-line block ×4, first 2 shown]
	v_add_f64 v[22:23], v[42:43], -v[46:47]
	s_waitcnt vmcnt(2) lgkmcnt(0)
	v_mul_f64 v[0:1], v[10:11], v[110:111]
	v_fma_f64 v[80:81], v[8:9], v[108:109], -v[0:1]
	s_waitcnt vmcnt(1)
	v_mul_f64 v[0:1], v[6:7], v[114:115]
	v_fma_f64 v[84:85], v[4:5], v[112:113], -v[0:1]
	v_fma_f64 v[74:75], v[30:31], v[100:101], v[14:15]
	ds_read_b128 v[12:15], v190 offset:20592
	buffer_store_dword v116, off, s[40:43], 0 offset:476 ; 4-byte Folded Spill
	buffer_store_dword v117, off, s[40:43], 0 offset:480 ; 4-byte Folded Spill
	;; [unrolled: 1-line block ×4, first 2 shown]
	v_add_f64 v[30:31], v[50:51], v[54:55]
	s_waitcnt vmcnt(0) lgkmcnt(0)
	v_mul_f64 v[0:1], v[14:15], v[122:123]
	v_fma_f64 v[90:91], v[12:13], v[120:121], -v[0:1]
	v_fma_f64 v[78:79], v[2:3], v[116:117], v[18:19]
	v_mul_f64 v[2:3], v[8:9], v[110:111]
	buffer_store_dword v108, off, s[40:43], 0 offset:444 ; 4-byte Folded Spill
	buffer_store_dword v109, off, s[40:43], 0 offset:448 ; 4-byte Folded Spill
	buffer_store_dword v110, off, s[40:43], 0 offset:452 ; 4-byte Folded Spill
	buffer_store_dword v111, off, s[40:43], 0 offset:456 ; 4-byte Folded Spill
	v_add_f64 v[18:19], v[42:43], v[46:47]
	v_fma_f64 v[82:83], v[10:11], v[108:109], v[2:3]
	v_mul_f64 v[2:3], v[4:5], v[114:115]
	buffer_store_dword v112, off, s[40:43], 0 offset:460 ; 4-byte Folded Spill
	buffer_store_dword v113, off, s[40:43], 0 offset:464 ; 4-byte Folded Spill
	;; [unrolled: 1-line block ×4, first 2 shown]
	v_add_f64 v[4:5], v[32:33], v[36:37]
	v_add_f64 v[10:11], v[34:35], -v[38:39]
	v_fma_f64 v[86:87], v[6:7], v[112:113], v[2:3]
	v_mul_f64 v[2:3], v[12:13], v[122:123]
	buffer_store_dword v120, off, s[40:43], 0 offset:492 ; 4-byte Folded Spill
	buffer_store_dword v121, off, s[40:43], 0 offset:496 ; 4-byte Folded Spill
	;; [unrolled: 1-line block ×4, first 2 shown]
	v_add_f64 v[6:7], v[34:35], v[38:39]
	v_fma_f64 v[92:93], v[14:15], v[120:121], v[2:3]
	ds_read_b128 v[0:3], v190 offset:3168
	ds_read_b128 v[12:15], v190 offset:4752
	s_waitcnt lgkmcnt(1)
	v_fma_f64 v[4:5], v[4:5], -0.5, v[0:1]
	v_fma_f64 v[6:7], v[6:7], -0.5, v[2:3]
	v_add_f64 v[2:3], v[2:3], v[34:35]
	v_add_f64 v[0:1], v[0:1], v[32:33]
	s_waitcnt lgkmcnt(0)
	v_fma_f64 v[18:19], v[18:19], -0.5, v[14:15]
	v_add_f64 v[34:35], v[50:51], -v[54:55]
	v_add_f64 v[14:15], v[14:15], v[42:43]
	v_add_f64 v[42:43], v[70:71], v[74:75]
	v_fma_f64 v[8:9], v[10:11], s[6:7], v[4:5]
	v_fma_f64 v[4:5], v[10:11], s[12:13], v[4:5]
	;; [unrolled: 1-line block ×4, first 2 shown]
	v_add_f64 v[16:17], v[40:41], v[44:45]
	v_add_f64 v[2:3], v[2:3], v[38:39]
	;; [unrolled: 1-line block ×4, first 2 shown]
	v_add_f64 v[46:47], v[70:71], -v[74:75]
	v_fma_f64 v[16:17], v[16:17], -0.5, v[12:13]
	v_add_f64 v[12:13], v[12:13], v[40:41]
	v_add_f64 v[40:41], v[48:49], -v[52:53]
	v_fma_f64 v[20:21], v[22:23], s[6:7], v[16:17]
	v_fma_f64 v[16:17], v[22:23], s[12:13], v[16:17]
	;; [unrolled: 1-line block ×4, first 2 shown]
	ds_read_b128 v[24:27], v190 offset:6336
	ds_read_b128 v[36:39], v190 offset:7920
	v_add_f64 v[12:13], v[12:13], v[44:45]
	s_waitcnt lgkmcnt(1)
	v_fma_f64 v[28:29], v[28:29], -0.5, v[24:25]
	v_fma_f64 v[30:31], v[30:31], -0.5, v[26:27]
	v_add_f64 v[26:27], v[26:27], v[50:51]
	v_add_f64 v[24:25], v[24:25], v[48:49]
	s_waitcnt lgkmcnt(0)
	v_fma_f64 v[42:43], v[42:43], -0.5, v[38:39]
	v_add_f64 v[48:49], v[68:69], -v[72:73]
	v_add_f64 v[38:39], v[38:39], v[70:71]
	v_fma_f64 v[32:33], v[34:35], s[6:7], v[28:29]
	v_fma_f64 v[28:29], v[34:35], s[12:13], v[28:29]
	;; [unrolled: 1-line block ×4, first 2 shown]
	v_add_f64 v[40:41], v[68:69], v[72:73]
	v_add_f64 v[26:27], v[26:27], v[54:55]
	;; [unrolled: 1-line block ×4, first 2 shown]
	v_fma_f64 v[40:41], v[40:41], -0.5, v[36:37]
	v_add_f64 v[36:37], v[36:37], v[68:69]
	v_add_f64 v[68:69], v[76:77], v[80:81]
	v_fma_f64 v[44:45], v[46:47], s[6:7], v[40:41]
	v_fma_f64 v[40:41], v[46:47], s[12:13], v[40:41]
	;; [unrolled: 1-line block ×4, first 2 shown]
	ds_read_b128 v[48:51], v190
	ds_read_b128 v[52:55], v190 offset:1584
	v_add_f64 v[36:37], v[36:37], v[72:73]
	s_waitcnt lgkmcnt(0)
	s_waitcnt_vscnt null, 0x0
	s_barrier
	buffer_gl0_inv
	v_fma_f64 v[72:73], v[68:69], -0.5, v[48:49]
	v_add_f64 v[68:69], v[78:79], v[82:83]
	v_add_f64 v[48:49], v[48:49], v[76:77]
	v_fma_f64 v[74:75], v[68:69], -0.5, v[50:51]
	v_add_f64 v[50:51], v[50:51], v[78:79]
	v_add_f64 v[78:79], v[78:79], -v[82:83]
	v_add_f64 v[68:69], v[48:49], v[80:81]
	v_add_f64 v[48:49], v[76:77], -v[80:81]
	v_add_f64 v[70:71], v[50:51], v[82:83]
	v_fma_f64 v[76:77], v[78:79], s[6:7], v[72:73]
	v_fma_f64 v[108:109], v[78:79], s[12:13], v[72:73]
	;; [unrolled: 1-line block ×4, first 2 shown]
	v_add_f64 v[48:49], v[84:85], v[90:91]
	v_add_f64 v[50:51], v[86:87], v[92:93]
	v_add_f64 v[72:73], v[86:87], -v[92:93]
	v_add_f64 v[74:75], v[84:85], -v[90:91]
	v_fma_f64 v[48:49], v[48:49], -0.5, v[52:53]
	v_add_f64 v[52:53], v[52:53], v[84:85]
	v_fma_f64 v[50:51], v[50:51], -0.5, v[54:55]
	v_add_f64 v[54:55], v[54:55], v[86:87]
	v_and_b32_e32 v86, 0xff, v65
	v_lshlrev_b32_sdwa v65, v193, v61 dst_sel:DWORD dst_unused:UNUSED_PAD src0_sel:DWORD src1_sel:WORD_0
	v_lshlrev_b32_sdwa v61, v193, v63 dst_sel:DWORD dst_unused:UNUSED_PAD src0_sel:DWORD src1_sel:WORD_0
	v_add_f64 v[112:113], v[52:53], v[90:91]
	v_fma_f64 v[52:53], v[72:73], s[6:7], v[48:49]
	v_fma_f64 v[48:49], v[72:73], s[12:13], v[48:49]
	v_mov_b32_e32 v72, 33
	v_add_f64 v[114:115], v[54:55], v[92:93]
	v_fma_f64 v[54:55], v[74:75], s[12:13], v[50:51]
	v_fma_f64 v[50:51], v[74:75], s[6:7], v[50:51]
	v_lshrrev_b16 v75, 13, v67
	v_mul_u32_u24_sdwa v73, v96, v72 dst_sel:DWORD dst_unused:UNUSED_PAD src0_sel:WORD_0 src1_sel:DWORD
	v_lshlrev_b32_sdwa v67, v193, v62 dst_sel:DWORD dst_unused:UNUSED_PAD src0_sel:DWORD src1_sel:WORD_0
	v_lshlrev_b32_sdwa v62, v193, v64 dst_sel:DWORD dst_unused:UNUSED_PAD src0_sel:DWORD src1_sel:WORD_0
	v_mul_lo_u16 v66, v75, 33
	v_add_lshl_u32 v73, v73, v97, 4
	ds_write_b128 v73, v[68:71]
	ds_write_b128 v73, v[76:79] offset:176
	v_mul_u32_u24_sdwa v68, v98, v72 dst_sel:DWORD dst_unused:UNUSED_PAD src0_sel:WORD_0 src1_sel:DWORD
	ds_write_b128 v73, v[108:111] offset:352
	buffer_store_dword v73, off, s[40:43], 0 offset:440 ; 4-byte Folded Spill
	v_add_lshl_u32 v68, v68, v99, 4
	ds_write_b128 v68, v[52:55] offset:176
	v_lshlrev_b32_e32 v52, 5, v86
	ds_write_b128 v68, v[112:115]
	buffer_store_dword v68, off, s[40:43], 0 offset:436 ; 4-byte Folded Spill
	ds_write_b128 v68, v[48:51] offset:352
	ds_write_b128 v67, v[0:3]
	ds_write_b128 v67, v[8:11] offset:176
	buffer_store_dword v67, off, s[40:43], 0 offset:752 ; 4-byte Folded Spill
	ds_write_b128 v67, v[4:7] offset:352
	ds_write_b128 v65, v[12:15]
	ds_write_b128 v65, v[20:23] offset:176
	;; [unrolled: 4-line block ×4, first 2 shown]
	buffer_store_dword v61, off, s[40:43], 0 offset:740 ; 4-byte Folded Spill
	ds_write_b128 v61, v[40:43] offset:352
	s_waitcnt lgkmcnt(0)
	s_waitcnt_vscnt null, 0x0
	s_barrier
	buffer_gl0_inv
	s_clause 0x1
	global_load_dwordx4 v[28:31], v52, s[4:5] offset:352
	global_load_dwordx4 v[42:45], v52, s[4:5] offset:368
	v_sub_nc_u16 v0, v192, v66
	v_mov_b32_e32 v48, 0xf83f
	v_and_b32_e32 v87, 0xff, v0
	v_mul_u32_u24_sdwa v0, v56, v48 dst_sel:DWORD dst_unused:UNUSED_PAD src0_sel:WORD_0 src1_sel:DWORD
	v_lshlrev_b32_e32 v1, 5, v87
	v_lshrrev_b32_e32 v90, 21, v0
	s_clause 0x1
	global_load_dwordx4 v[184:187], v1, s[4:5] offset:352
	global_load_dwordx4 v[49:52], v1, s[4:5] offset:368
	v_mul_lo_u16 v0, v90, 33
	v_sub_nc_u16 v91, v56, v0
	v_lshlrev_b16 v0, 5, v91
	v_and_b32_e32 v0, 0xffff, v0
	v_add_co_u32 v0, s0, s4, v0
	v_add_co_ci_u32_e64 v1, null, s5, 0, s0
	s_clause 0x1
	global_load_dwordx4 v[34:37], v[0:1], off offset:352
	global_load_dwordx4 v[38:41], v[0:1], off offset:368
	ds_read_b128 v[0:3], v190 offset:9504
	ds_read_b128 v[4:7], v190 offset:19008
	;; [unrolled: 1-line block ×4, first 2 shown]
	s_waitcnt vmcnt(5) lgkmcnt(3)
	v_mul_f64 v[16:17], v[2:3], v[30:31]
	s_waitcnt vmcnt(4) lgkmcnt(2)
	v_mul_f64 v[20:21], v[6:7], v[44:45]
	v_mul_f64 v[18:19], v[0:1], v[30:31]
	;; [unrolled: 1-line block ×3, first 2 shown]
	s_waitcnt vmcnt(3) lgkmcnt(1)
	v_mul_f64 v[24:25], v[10:11], v[186:187]
	v_mul_f64 v[26:27], v[8:9], v[186:187]
	v_fma_f64 v[16:17], v[0:1], v[28:29], -v[16:17]
	buffer_store_dword v28, off, s[40:43], 0 offset:708 ; 4-byte Folded Spill
	buffer_store_dword v29, off, s[40:43], 0 offset:712 ; 4-byte Folded Spill
	;; [unrolled: 1-line block ×4, first 2 shown]
	v_fma_f64 v[20:21], v[4:5], v[42:43], -v[20:21]
	buffer_store_dword v42, off, s[40:43], 0 offset:660 ; 4-byte Folded Spill
	buffer_store_dword v43, off, s[40:43], 0 offset:664 ; 4-byte Folded Spill
	;; [unrolled: 1-line block ×4, first 2 shown]
	s_waitcnt vmcnt(2) lgkmcnt(0)
	v_mul_f64 v[30:31], v[12:13], v[51:52]
	v_fma_f64 v[24:25], v[8:9], v[184:185], -v[24:25]
	v_fma_f64 v[26:27], v[10:11], v[184:185], v[26:27]
	v_fma_f64 v[18:19], v[2:3], v[28:29], v[18:19]
	ds_read_b128 v[0:3], v190 offset:12672
	v_mul_f64 v[28:29], v[14:15], v[51:52]
	v_fma_f64 v[22:23], v[6:7], v[42:43], v[22:23]
	ds_read_b128 v[4:7], v190 offset:14256
	s_waitcnt vmcnt(1) lgkmcnt(1)
	v_mul_f64 v[8:9], v[2:3], v[36:37]
	v_mul_f64 v[10:11], v[0:1], v[36:37]
	v_fma_f64 v[28:29], v[12:13], v[49:50], -v[28:29]
	buffer_store_dword v49, off, s[40:43], 0 offset:692 ; 4-byte Folded Spill
	buffer_store_dword v50, off, s[40:43], 0 offset:696 ; 4-byte Folded Spill
	;; [unrolled: 1-line block ×4, first 2 shown]
	v_fma_f64 v[32:33], v[0:1], v[34:35], -v[8:9]
	buffer_store_dword v34, off, s[40:43], 0 offset:612 ; 4-byte Folded Spill
	buffer_store_dword v35, off, s[40:43], 0 offset:616 ; 4-byte Folded Spill
	;; [unrolled: 1-line block ×4, first 2 shown]
	v_fma_f64 v[30:31], v[14:15], v[49:50], v[30:31]
	v_fma_f64 v[34:35], v[2:3], v[34:35], v[10:11]
	ds_read_b128 v[0:3], v190 offset:22176
	ds_read_b128 v[8:11], v190 offset:23760
	s_waitcnt vmcnt(0) lgkmcnt(1)
	v_mul_f64 v[12:13], v[2:3], v[40:41]
	v_fma_f64 v[36:37], v[0:1], v[38:39], -v[12:13]
	v_mul_f64 v[0:1], v[0:1], v[40:41]
	buffer_store_dword v38, off, s[40:43], 0 offset:576 ; 4-byte Folded Spill
	buffer_store_dword v39, off, s[40:43], 0 offset:580 ; 4-byte Folded Spill
	;; [unrolled: 1-line block ×4, first 2 shown]
	v_fma_f64 v[38:39], v[2:3], v[38:39], v[0:1]
	v_mul_u32_u24_sdwa v0, v57, v48 dst_sel:DWORD dst_unused:UNUSED_PAD src0_sel:WORD_0 src1_sel:DWORD
	v_lshrrev_b32_e32 v92, 21, v0
	v_mul_lo_u16 v0, v92, 33
	v_sub_nc_u16 v93, v57, v0
	v_lshlrev_b16 v0, 5, v93
	v_and_b32_e32 v0, 0xffff, v0
	v_add_co_u32 v0, s0, s4, v0
	v_add_co_ci_u32_e64 v1, null, s5, 0, s0
	s_clause 0x1
	global_load_dwordx4 v[76:79], v[0:1], off offset:352
	global_load_dwordx4 v[12:15], v[0:1], off offset:368
	s_waitcnt vmcnt(1)
	v_mul_f64 v[0:1], v[6:7], v[78:79]
	v_fma_f64 v[40:41], v[4:5], v[76:77], -v[0:1]
	v_mul_f64 v[0:1], v[4:5], v[78:79]
	v_fma_f64 v[42:43], v[6:7], v[76:77], v[0:1]
	s_waitcnt vmcnt(0) lgkmcnt(0)
	v_mul_f64 v[0:1], v[10:11], v[14:15]
	v_fma_f64 v[44:45], v[8:9], v[12:13], -v[0:1]
	v_mul_f64 v[0:1], v[8:9], v[14:15]
	buffer_store_dword v12, off, s[40:43], 0 offset:676 ; 4-byte Folded Spill
	buffer_store_dword v13, off, s[40:43], 0 offset:680 ; 4-byte Folded Spill
	;; [unrolled: 1-line block ×4, first 2 shown]
	v_fma_f64 v[46:47], v[10:11], v[12:13], v[0:1]
	v_mul_u32_u24_sdwa v0, v58, v48 dst_sel:DWORD dst_unused:UNUSED_PAD src0_sel:WORD_0 src1_sel:DWORD
	v_lshrrev_b32_e32 v94, 21, v0
	v_mul_lo_u16 v0, v94, 33
	v_sub_nc_u16 v95, v58, v0
	v_lshlrev_b16 v0, 5, v95
	v_and_b32_e32 v0, 0xffff, v0
	v_add_co_u32 v0, s0, s4, v0
	v_add_co_ci_u32_e64 v1, null, s5, 0, s0
	s_clause 0x1
	global_load_dwordx4 v[10:13], v[0:1], off offset:352
	global_load_dwordx4 v[49:52], v[0:1], off offset:368
	ds_read_b128 v[0:3], v190 offset:15840
	ds_read_b128 v[4:7], v190 offset:17424
	s_waitcnt vmcnt(1) lgkmcnt(1)
	v_mul_f64 v[8:9], v[2:3], v[12:13]
	v_fma_f64 v[61:62], v[0:1], v[10:11], -v[8:9]
	v_mul_f64 v[0:1], v[0:1], v[12:13]
	buffer_store_dword v10, off, s[40:43], 0 offset:592 ; 4-byte Folded Spill
	buffer_store_dword v11, off, s[40:43], 0 offset:596 ; 4-byte Folded Spill
	buffer_store_dword v12, off, s[40:43], 0 offset:600 ; 4-byte Folded Spill
	buffer_store_dword v13, off, s[40:43], 0 offset:604 ; 4-byte Folded Spill
	v_fma_f64 v[63:64], v[2:3], v[10:11], v[0:1]
	ds_read_b128 v[0:3], v190 offset:25344
	ds_read_b128 v[8:11], v190 offset:26928
	s_waitcnt vmcnt(0) lgkmcnt(1)
	v_mul_f64 v[12:13], v[2:3], v[51:52]
	v_fma_f64 v[65:66], v[0:1], v[49:50], -v[12:13]
	v_mul_f64 v[0:1], v[0:1], v[51:52]
	buffer_store_dword v49, off, s[40:43], 0 offset:560 ; 4-byte Folded Spill
	buffer_store_dword v50, off, s[40:43], 0 offset:564 ; 4-byte Folded Spill
	;; [unrolled: 1-line block ×4, first 2 shown]
	v_add_f64 v[82:83], v[61:62], v[65:66]
	v_fma_f64 v[67:68], v[2:3], v[49:50], v[0:1]
	v_mul_u32_u24_sdwa v0, v59, v48 dst_sel:DWORD dst_unused:UNUSED_PAD src0_sel:WORD_0 src1_sel:DWORD
	v_lshrrev_b32_e32 v96, 21, v0
	v_mul_lo_u16 v0, v96, 33
	v_sub_nc_u16 v97, v59, v0
	v_lshlrev_b16 v0, 5, v97
	v_add_f64 v[84:85], v[63:64], v[67:68]
	v_and_b32_e32 v0, 0xffff, v0
	v_add_co_u32 v0, s0, s4, v0
	v_add_co_ci_u32_e64 v1, null, s5, 0, s0
	s_clause 0x1
	global_load_dwordx4 v[48:51], v[0:1], off offset:352
	global_load_dwordx4 v[12:15], v[0:1], off offset:368
	s_waitcnt vmcnt(1)
	v_mul_f64 v[0:1], v[6:7], v[50:51]
	v_fma_f64 v[69:70], v[4:5], v[48:49], -v[0:1]
	v_mul_f64 v[0:1], v[4:5], v[50:51]
	buffer_store_dword v48, off, s[40:43], 0 offset:644 ; 4-byte Folded Spill
	buffer_store_dword v49, off, s[40:43], 0 offset:648 ; 4-byte Folded Spill
	;; [unrolled: 1-line block ×4, first 2 shown]
	v_add_f64 v[50:51], v[34:35], v[38:39]
	v_fma_f64 v[71:72], v[6:7], v[48:49], v[0:1]
	s_waitcnt vmcnt(0) lgkmcnt(0)
	v_mul_f64 v[0:1], v[10:11], v[14:15]
	v_add_f64 v[48:49], v[32:33], v[36:37]
	v_fma_f64 v[73:74], v[8:9], v[12:13], -v[0:1]
	v_mul_f64 v[0:1], v[8:9], v[14:15]
	buffer_store_dword v12, off, s[40:43], 0 offset:628 ; 4-byte Folded Spill
	buffer_store_dword v13, off, s[40:43], 0 offset:632 ; 4-byte Folded Spill
	;; [unrolled: 1-line block ×4, first 2 shown]
	v_add_f64 v[8:9], v[16:17], v[20:21]
	v_fma_f64 v[80:81], v[10:11], v[12:13], v[0:1]
	ds_read_b128 v[0:3], v190
	ds_read_b128 v[4:7], v190 offset:1584
	v_add_f64 v[12:13], v[18:19], -v[22:23]
	s_waitcnt lgkmcnt(1)
	v_fma_f64 v[10:11], v[8:9], -0.5, v[0:1]
	v_add_f64 v[8:9], v[18:19], v[22:23]
	v_add_f64 v[0:1], v[0:1], v[16:17]
	v_add_f64 v[16:17], v[16:17], -v[20:21]
	v_fma_f64 v[14:15], v[8:9], -0.5, v[2:3]
	v_fma_f64 v[8:9], v[12:13], s[6:7], v[10:11]
	v_fma_f64 v[12:13], v[12:13], s[12:13], v[10:11]
	v_add_f64 v[2:3], v[2:3], v[18:19]
	v_add_f64 v[0:1], v[0:1], v[20:21]
	v_add_f64 v[20:21], v[26:27], -v[30:31]
	v_fma_f64 v[10:11], v[16:17], s[12:13], v[14:15]
	v_fma_f64 v[14:15], v[16:17], s[6:7], v[14:15]
	v_add_f64 v[16:17], v[24:25], v[28:29]
	v_add_f64 v[2:3], v[2:3], v[22:23]
	s_waitcnt lgkmcnt(0)
	v_fma_f64 v[18:19], v[16:17], -0.5, v[4:5]
	v_add_f64 v[16:17], v[26:27], v[30:31]
	v_add_f64 v[4:5], v[4:5], v[24:25]
	v_add_f64 v[24:25], v[24:25], -v[28:29]
	v_fma_f64 v[22:23], v[16:17], -0.5, v[6:7]
	v_add_f64 v[6:7], v[6:7], v[26:27]
	v_add_f64 v[4:5], v[4:5], v[28:29]
	v_fma_f64 v[16:17], v[20:21], s[6:7], v[18:19]
	v_fma_f64 v[20:21], v[20:21], s[12:13], v[18:19]
	;; [unrolled: 1-line block ×3, first 2 shown]
	v_add_f64 v[6:7], v[6:7], v[30:31]
	v_fma_f64 v[22:23], v[24:25], s[6:7], v[22:23]
	ds_read_b128 v[24:27], v190 offset:3168
	ds_read_b128 v[28:31], v190 offset:4752
	s_waitcnt lgkmcnt(1)
	v_fma_f64 v[50:51], v[50:51], -0.5, v[26:27]
	v_add_f64 v[26:27], v[26:27], v[34:35]
	v_fma_f64 v[48:49], v[48:49], -0.5, v[24:25]
	v_add_f64 v[24:25], v[24:25], v[32:33]
	v_add_f64 v[34:35], v[34:35], -v[38:39]
	v_add_f64 v[26:27], v[26:27], v[38:39]
	v_add_f64 v[38:39], v[32:33], -v[36:37]
	v_add_f64 v[24:25], v[24:25], v[36:37]
	v_fma_f64 v[32:33], v[34:35], s[6:7], v[48:49]
	v_fma_f64 v[36:37], v[34:35], s[12:13], v[48:49]
	v_add_f64 v[48:49], v[40:41], v[44:45]
	v_fma_f64 v[34:35], v[38:39], s[12:13], v[50:51]
	v_fma_f64 v[38:39], v[38:39], s[6:7], v[50:51]
	v_add_f64 v[50:51], v[42:43], v[46:47]
	s_waitcnt lgkmcnt(0)
	v_fma_f64 v[48:49], v[48:49], -0.5, v[28:29]
	v_add_f64 v[28:29], v[28:29], v[40:41]
	v_fma_f64 v[50:51], v[50:51], -0.5, v[30:31]
	v_add_f64 v[30:31], v[30:31], v[42:43]
	v_add_f64 v[42:43], v[42:43], -v[46:47]
	v_add_f64 v[28:29], v[28:29], v[44:45]
	v_add_f64 v[30:31], v[30:31], v[46:47]
	v_add_f64 v[46:47], v[40:41], -v[44:45]
	v_fma_f64 v[40:41], v[42:43], s[6:7], v[48:49]
	v_fma_f64 v[44:45], v[42:43], s[12:13], v[48:49]
	v_fma_f64 v[42:43], v[46:47], s[12:13], v[50:51]
	v_fma_f64 v[46:47], v[46:47], s[6:7], v[50:51]
	ds_read_b128 v[48:51], v190 offset:6336
	ds_read_b128 v[52:55], v190 offset:7920
	s_waitcnt lgkmcnt(0)
	s_waitcnt_vscnt null, 0x0
	s_barrier
	buffer_gl0_inv
	v_fma_f64 v[84:85], v[84:85], -0.5, v[50:51]
	v_add_f64 v[50:51], v[50:51], v[63:64]
	v_fma_f64 v[82:83], v[82:83], -0.5, v[48:49]
	v_add_f64 v[48:49], v[48:49], v[61:62]
	v_add_f64 v[63:64], v[63:64], -v[67:68]
	v_add_f64 v[50:51], v[50:51], v[67:68]
	v_add_f64 v[67:68], v[61:62], -v[65:66]
	v_add_f64 v[48:49], v[48:49], v[65:66]
	v_fma_f64 v[61:62], v[63:64], s[6:7], v[82:83]
	v_fma_f64 v[65:66], v[63:64], s[12:13], v[82:83]
	v_add_f64 v[82:83], v[69:70], v[73:74]
	v_fma_f64 v[63:64], v[67:68], s[12:13], v[84:85]
	v_fma_f64 v[67:68], v[67:68], s[6:7], v[84:85]
	v_add_f64 v[84:85], v[71:72], v[80:81]
	v_fma_f64 v[82:83], v[82:83], -0.5, v[52:53]
	v_add_f64 v[52:53], v[52:53], v[69:70]
	v_add_f64 v[69:70], v[69:70], -v[73:74]
	v_fma_f64 v[84:85], v[84:85], -0.5, v[54:55]
	v_add_f64 v[54:55], v[54:55], v[71:72]
	v_add_f64 v[71:72], v[71:72], -v[80:81]
	v_add_f64 v[52:53], v[52:53], v[73:74]
	v_fma_f64 v[110:111], v[69:70], s[12:13], v[84:85]
	v_fma_f64 v[114:115], v[69:70], s[6:7], v[84:85]
	v_mov_b32_e32 v69, 0x63
	v_add_f64 v[54:55], v[54:55], v[80:81]
	v_fma_f64 v[112:113], v[71:72], s[12:13], v[82:83]
	v_fma_f64 v[108:109], v[71:72], s[6:7], v[82:83]
	v_mul_u32_u24_sdwa v60, v60, v69 dst_sel:DWORD dst_unused:UNUSED_PAD src0_sel:WORD_0 src1_sel:DWORD
	v_add_lshl_u32 v60, v60, v86, 4
	ds_write_b128 v60, v[0:3]
	ds_write_b128 v60, v[8:11] offset:528
	v_mul_u32_u24_sdwa v0, v75, v69 dst_sel:DWORD dst_unused:UNUSED_PAD src0_sel:WORD_0 src1_sel:DWORD
	buffer_store_dword v60, off, s[40:43], 0 offset:608 ; 4-byte Folded Spill
	ds_write_b128 v60, v[12:15] offset:1056
	v_add_lshl_u32 v0, v0, v87, 4
	ds_write_b128 v0, v[4:7]
	ds_write_b128 v0, v[16:19] offset:528
	buffer_store_dword v0, off, s[40:43], 0 offset:556 ; 4-byte Folded Spill
	ds_write_b128 v0, v[20:23] offset:1056
	v_mad_u16 v0, 0x63, v90, v91
	v_lshlrev_b32_sdwa v0, v193, v0 dst_sel:DWORD dst_unused:UNUSED_PAD src0_sel:DWORD src1_sel:WORD_0
	ds_write_b128 v0, v[24:27]
	ds_write_b128 v0, v[32:35] offset:528
	buffer_store_dword v0, off, s[40:43], 0 offset:552 ; 4-byte Folded Spill
	ds_write_b128 v0, v[36:39] offset:1056
	v_mad_u16 v0, 0x63, v92, v93
	v_lshlrev_b32_sdwa v0, v193, v0 dst_sel:DWORD dst_unused:UNUSED_PAD src0_sel:DWORD src1_sel:WORD_0
	ds_write_b128 v0, v[28:31]
	ds_write_b128 v0, v[40:43] offset:528
	buffer_store_dword v0, off, s[40:43], 0 offset:548 ; 4-byte Folded Spill
	ds_write_b128 v0, v[44:47] offset:1056
	v_mad_u16 v0, 0x63, v94, v95
	v_mov_b32_e32 v31, 0xa57f
	v_lshlrev_b32_sdwa v0, v193, v0 dst_sel:DWORD dst_unused:UNUSED_PAD src0_sel:DWORD src1_sel:WORD_0
	ds_write_b128 v0, v[48:51]
	ds_write_b128 v0, v[61:64] offset:528
	buffer_store_dword v0, off, s[40:43], 0 offset:512 ; 4-byte Folded Spill
	ds_write_b128 v0, v[65:68] offset:1056
	v_mad_u16 v0, 0x63, v96, v97
	v_lshlrev_b32_sdwa v1, v193, v0 dst_sel:DWORD dst_unused:UNUSED_PAD src0_sel:DWORD src1_sel:WORD_0
	v_lshlrev_b32_e32 v0, 5, v216
	ds_write_b128 v1, v[52:55]
	ds_write_b128 v1, v[108:111] offset:528
	buffer_store_dword v216, off, s[40:43], 0 offset:128 ; 4-byte Folded Spill
	buffer_store_dword v1, off, s[40:43], 0 offset:508 ; 4-byte Folded Spill
	ds_write_b128 v1, v[112:115] offset:1056
	s_waitcnt lgkmcnt(0)
	s_waitcnt_vscnt null, 0x0
	s_barrier
	buffer_gl0_inv
	s_clause 0x1
	global_load_dwordx4 v[108:111], v0, s[4:5] offset:1408
	global_load_dwordx4 v[244:247], v0, s[4:5] offset:1424
	ds_read_b128 v[1:4], v190 offset:9504
	ds_read_b128 v[5:8], v190 offset:11088
	s_waitcnt vmcnt(1) lgkmcnt(1)
	v_mul_f64 v[9:10], v[3:4], v[110:111]
	v_fma_f64 v[13:14], v[1:2], v[108:109], -v[9:10]
	v_mul_f64 v[1:2], v[1:2], v[110:111]
	v_fma_f64 v[15:16], v[3:4], v[108:109], v[1:2]
	ds_read_b128 v[1:4], v190 offset:19008
	ds_read_b128 v[9:12], v190 offset:20592
	s_waitcnt vmcnt(0) lgkmcnt(1)
	v_mul_f64 v[17:18], v[3:4], v[246:247]
	v_fma_f64 v[17:18], v[1:2], v[244:245], -v[17:18]
	v_mul_f64 v[1:2], v[1:2], v[246:247]
	v_fma_f64 v[19:20], v[3:4], v[244:245], v[1:2]
	v_mul_f64 v[1:2], v[7:8], v[110:111]
	v_fma_f64 v[21:22], v[5:6], v[108:109], -v[1:2]
	v_mul_f64 v[1:2], v[5:6], v[110:111]
	v_fma_f64 v[23:24], v[7:8], v[108:109], v[1:2]
	s_waitcnt lgkmcnt(0)
	v_mul_f64 v[1:2], v[11:12], v[246:247]
	v_fma_f64 v[25:26], v[9:10], v[244:245], -v[1:2]
	v_mul_f64 v[1:2], v[9:10], v[246:247]
	v_fma_f64 v[27:28], v[11:12], v[244:245], v[1:2]
	v_mul_u32_u24_sdwa v1, v56, v31 dst_sel:DWORD dst_unused:UNUSED_PAD src0_sel:WORD_0 src1_sel:DWORD
	v_lshrrev_b32_e32 v1, 22, v1
	v_mul_lo_u16 v1, 0x63, v1
	v_sub_nc_u16 v55, v56, v1
	v_lshlrev_b16 v1, 5, v55
	v_and_b32_e32 v1, 0xffff, v1
	v_add_co_u32 v1, s0, s4, v1
	v_add_co_ci_u32_e64 v2, null, s5, 0, s0
	s_clause 0x1
	global_load_dwordx4 v[224:227], v[1:2], off offset:1408
	global_load_dwordx4 v[220:223], v[1:2], off offset:1424
	ds_read_b128 v[1:4], v190 offset:12672
	ds_read_b128 v[5:8], v190 offset:14256
	s_waitcnt vmcnt(1) lgkmcnt(1)
	v_mul_f64 v[9:10], v[3:4], v[226:227]
	v_fma_f64 v[33:34], v[1:2], v[224:225], -v[9:10]
	v_mul_f64 v[1:2], v[1:2], v[226:227]
	v_fma_f64 v[35:36], v[3:4], v[224:225], v[1:2]
	ds_read_b128 v[1:4], v190 offset:22176
	ds_read_b128 v[9:12], v190 offset:23760
	s_waitcnt vmcnt(0) lgkmcnt(1)
	v_mul_f64 v[29:30], v[3:4], v[222:223]
	v_fma_f64 v[37:38], v[1:2], v[220:221], -v[29:30]
	v_mul_f64 v[1:2], v[1:2], v[222:223]
	v_add_f64 v[49:50], v[33:34], v[37:38]
	v_fma_f64 v[39:40], v[3:4], v[220:221], v[1:2]
	v_mul_u32_u24_sdwa v1, v57, v31 dst_sel:DWORD dst_unused:UNUSED_PAD src0_sel:WORD_0 src1_sel:DWORD
	v_lshrrev_b32_e32 v1, 22, v1
	v_mul_lo_u16 v1, 0x63, v1
	v_sub_nc_u16 v75, v57, v1
	v_lshlrev_b16 v1, 5, v75
	v_add_f64 v[51:52], v[35:36], v[39:40]
	v_and_b32_e32 v1, 0xffff, v1
	v_add_co_u32 v1, s0, s4, v1
	v_add_co_ci_u32_e64 v2, null, s5, 0, s0
	s_clause 0x1
	global_load_dwordx4 v[240:243], v[1:2], off offset:1408
	global_load_dwordx4 v[236:239], v[1:2], off offset:1424
	s_waitcnt vmcnt(1)
	v_mul_f64 v[1:2], v[7:8], v[242:243]
	v_fma_f64 v[41:42], v[5:6], v[240:241], -v[1:2]
	v_mul_f64 v[1:2], v[5:6], v[242:243]
	v_fma_f64 v[43:44], v[7:8], v[240:241], v[1:2]
	s_waitcnt vmcnt(0) lgkmcnt(0)
	v_mul_f64 v[1:2], v[11:12], v[238:239]
	v_fma_f64 v[45:46], v[9:10], v[236:237], -v[1:2]
	v_mul_f64 v[1:2], v[9:10], v[238:239]
	v_fma_f64 v[47:48], v[11:12], v[236:237], v[1:2]
	v_mul_u32_u24_sdwa v1, v58, v31 dst_sel:DWORD dst_unused:UNUSED_PAD src0_sel:WORD_0 src1_sel:DWORD
	v_lshrrev_b32_e32 v1, 22, v1
	v_mul_lo_u16 v1, 0x63, v1
	v_sub_nc_u16 v86, v58, v1
	v_lshlrev_b16 v1, 5, v86
	v_and_b32_e32 v1, 0xffff, v1
	v_add_co_u32 v1, s0, s4, v1
	v_add_co_ci_u32_e64 v2, null, s5, 0, s0
	s_clause 0x1
	global_load_dwordx4 v[232:235], v[1:2], off offset:1408
	global_load_dwordx4 v[228:231], v[1:2], off offset:1424
	ds_read_b128 v[1:4], v190 offset:15840
	ds_read_b128 v[5:8], v190 offset:17424
	s_waitcnt vmcnt(1) lgkmcnt(1)
	v_mul_f64 v[9:10], v[3:4], v[234:235]
	v_fma_f64 v[53:54], v[1:2], v[232:233], -v[9:10]
	v_mul_f64 v[1:2], v[1:2], v[234:235]
	v_fma_f64 v[61:62], v[3:4], v[232:233], v[1:2]
	ds_read_b128 v[1:4], v190 offset:25344
	ds_read_b128 v[9:12], v190 offset:26928
	s_waitcnt vmcnt(0) lgkmcnt(1)
	v_mul_f64 v[29:30], v[3:4], v[230:231]
	v_fma_f64 v[63:64], v[1:2], v[228:229], -v[29:30]
	v_mul_f64 v[1:2], v[1:2], v[230:231]
	v_add_f64 v[67:68], v[53:54], v[63:64]
	v_fma_f64 v[65:66], v[3:4], v[228:229], v[1:2]
	v_mul_u32_u24_sdwa v1, v59, v31 dst_sel:DWORD dst_unused:UNUSED_PAD src0_sel:WORD_0 src1_sel:DWORD
	v_lshrrev_b32_e32 v1, 22, v1
	v_mul_lo_u16 v1, 0x63, v1
	v_sub_nc_u16 v87, v59, v1
	v_lshlrev_b16 v1, 5, v87
	v_add_f64 v[82:83], v[61:62], v[65:66]
	v_add_f64 v[84:85], v[61:62], -v[65:66]
	v_and_b32_e32 v1, 0xffff, v1
	v_add_co_u32 v1, s0, s4, v1
	v_add_co_ci_u32_e64 v2, null, s5, 0, s0
	s_clause 0x1
	global_load_dwordx4 v[252:255], v[1:2], off offset:1408
	global_load_dwordx4 v[248:251], v[1:2], off offset:1424
	s_waitcnt vmcnt(1)
	v_mul_f64 v[1:2], v[7:8], v[254:255]
	v_fma_f64 v[69:70], v[5:6], v[252:253], -v[1:2]
	v_mul_f64 v[1:2], v[5:6], v[254:255]
	v_fma_f64 v[71:72], v[7:8], v[252:253], v[1:2]
	s_waitcnt vmcnt(0) lgkmcnt(0)
	v_mul_f64 v[1:2], v[11:12], v[250:251]
	v_fma_f64 v[73:74], v[9:10], v[248:249], -v[1:2]
	v_mul_f64 v[1:2], v[9:10], v[250:251]
	v_add_f64 v[9:10], v[13:14], v[17:18]
	v_fma_f64 v[80:81], v[11:12], v[248:249], v[1:2]
	ds_read_b128 v[1:4], v190
	ds_read_b128 v[5:8], v190 offset:1584
	s_waitcnt lgkmcnt(1)
	v_fma_f64 v[11:12], v[9:10], -0.5, v[1:2]
	v_add_f64 v[9:10], v[15:16], v[19:20]
	v_add_f64 v[1:2], v[1:2], v[13:14]
	v_fma_f64 v[29:30], v[9:10], -0.5, v[3:4]
	v_add_f64 v[3:4], v[3:4], v[15:16]
	v_add_f64 v[15:16], v[15:16], -v[19:20]
	v_add_f64 v[1:2], v[1:2], v[17:18]
	v_add_f64 v[17:18], v[13:14], -v[17:18]
	v_add_f64 v[3:4], v[3:4], v[19:20]
	v_fma_f64 v[9:10], v[15:16], s[6:7], v[11:12]
	v_fma_f64 v[13:14], v[15:16], s[12:13], v[11:12]
	;; [unrolled: 1-line block ×4, first 2 shown]
	v_add_f64 v[17:18], v[21:22], v[25:26]
	s_waitcnt lgkmcnt(0)
	v_fma_f64 v[19:20], v[17:18], -0.5, v[5:6]
	v_add_f64 v[17:18], v[23:24], v[27:28]
	v_add_f64 v[5:6], v[5:6], v[21:22]
	v_fma_f64 v[29:30], v[17:18], -0.5, v[7:8]
	v_add_f64 v[7:8], v[7:8], v[23:24]
	v_add_f64 v[23:24], v[23:24], -v[27:28]
	v_add_f64 v[5:6], v[5:6], v[25:26]
	v_add_f64 v[25:26], v[21:22], -v[25:26]
	v_add_f64 v[7:8], v[7:8], v[27:28]
	v_fma_f64 v[17:18], v[23:24], s[6:7], v[19:20]
	v_fma_f64 v[21:22], v[23:24], s[12:13], v[19:20]
	;; [unrolled: 1-line block ×4, first 2 shown]
	ds_read_b128 v[25:28], v190 offset:3168
	ds_read_b128 v[29:32], v190 offset:4752
	s_waitcnt lgkmcnt(1)
	v_fma_f64 v[51:52], v[51:52], -0.5, v[27:28]
	v_add_f64 v[27:28], v[27:28], v[35:36]
	v_fma_f64 v[49:50], v[49:50], -0.5, v[25:26]
	v_add_f64 v[25:26], v[25:26], v[33:34]
	v_add_f64 v[35:36], v[35:36], -v[39:40]
	v_add_f64 v[27:28], v[27:28], v[39:40]
	v_add_f64 v[39:40], v[33:34], -v[37:38]
	v_add_f64 v[25:26], v[25:26], v[37:38]
	v_fma_f64 v[33:34], v[35:36], s[6:7], v[49:50]
	v_fma_f64 v[37:38], v[35:36], s[12:13], v[49:50]
	v_add_f64 v[49:50], v[41:42], v[45:46]
	v_fma_f64 v[35:36], v[39:40], s[12:13], v[51:52]
	v_fma_f64 v[39:40], v[39:40], s[6:7], v[51:52]
	v_add_f64 v[51:52], v[43:44], v[47:48]
	s_waitcnt lgkmcnt(0)
	v_fma_f64 v[49:50], v[49:50], -0.5, v[29:30]
	v_add_f64 v[29:30], v[29:30], v[41:42]
	v_fma_f64 v[51:52], v[51:52], -0.5, v[31:32]
	v_add_f64 v[31:32], v[31:32], v[43:44]
	v_add_f64 v[43:44], v[43:44], -v[47:48]
	v_add_f64 v[29:30], v[29:30], v[45:46]
	v_add_f64 v[31:32], v[31:32], v[47:48]
	v_add_f64 v[47:48], v[41:42], -v[45:46]
	v_fma_f64 v[41:42], v[43:44], s[6:7], v[49:50]
	v_fma_f64 v[45:46], v[43:44], s[12:13], v[49:50]
	;; [unrolled: 1-line block ×4, first 2 shown]
	ds_read_b128 v[49:52], v190 offset:6336
	ds_read_b128 v[57:60], v190 offset:7920
	s_waitcnt lgkmcnt(0)
	s_barrier
	buffer_gl0_inv
	ds_write_b128 v190, v[1:4]
	ds_write_b128 v190, v[5:8] offset:4752
	ds_write_b128 v190, v[9:12] offset:1584
	;; [unrolled: 1-line block ×5, first 2 shown]
	v_lshlrev_b32_sdwa v1, v193, v55 dst_sel:DWORD dst_unused:UNUSED_PAD src0_sel:DWORD src1_sel:WORD_0
	ds_write_b128 v1, v[25:28] offset:9504
	ds_write_b128 v1, v[33:36] offset:11088
	buffer_store_dword v1, off, s[40:43], 0 offset:736 ; 4-byte Folded Spill
	ds_write_b128 v1, v[37:40] offset:12672
	v_lshlrev_b32_sdwa v1, v193, v75 dst_sel:DWORD dst_unused:UNUSED_PAD src0_sel:DWORD src1_sel:WORD_0
	ds_write_b128 v1, v[29:32] offset:14256
	ds_write_b128 v1, v[41:44] offset:15840
	v_fma_f64 v[67:68], v[67:68], -0.5, v[49:50]
	v_fma_f64 v[82:83], v[82:83], -0.5, v[51:52]
	v_add_f64 v[51:52], v[51:52], v[61:62]
	v_add_f64 v[49:50], v[49:50], v[53:54]
	v_add_f64 v[53:54], v[53:54], -v[63:64]
	buffer_store_dword v1, off, s[40:43], 0 offset:732 ; 4-byte Folded Spill
	ds_write_b128 v1, v[45:48] offset:17424
	v_lshlrev_b32_sdwa v1, v193, v86 dst_sel:DWORD dst_unused:UNUSED_PAD src0_sel:DWORD src1_sel:WORD_0
	v_add_co_u32 v2, s0, s4, v0
	v_add_co_ci_u32_e64 v3, null, s5, 0, s0
	v_add_co_u32 v0, s0, 0x1000, v2
	v_fma_f64 v[61:62], v[84:85], s[6:7], v[67:68]
	v_add_f64 v[51:52], v[51:52], v[65:66]
	v_add_f64 v[49:50], v[49:50], v[63:64]
	v_fma_f64 v[65:66], v[84:85], s[12:13], v[67:68]
	v_fma_f64 v[63:64], v[53:54], s[12:13], v[82:83]
	;; [unrolled: 1-line block ×3, first 2 shown]
	v_add_f64 v[53:54], v[69:70], v[73:74]
	v_add_f64 v[82:83], v[71:72], v[80:81]
	ds_write_b128 v1, v[49:52] offset:19008
	ds_write_b128 v1, v[61:64] offset:20592
	buffer_store_dword v1, off, s[40:43], 0 offset:728 ; 4-byte Folded Spill
	ds_write_b128 v1, v[65:68] offset:22176
	v_fma_f64 v[53:54], v[53:54], -0.5, v[57:58]
	v_fma_f64 v[82:83], v[82:83], -0.5, v[59:60]
	v_add_f64 v[59:60], v[59:60], v[71:72]
	v_add_f64 v[57:58], v[57:58], v[69:70]
	v_add_f64 v[71:72], v[71:72], -v[80:81]
	v_add_f64 v[69:70], v[69:70], -v[73:74]
	v_lshlrev_b32_sdwa v1, v193, v87 dst_sel:DWORD dst_unused:UNUSED_PAD src0_sel:DWORD src1_sel:WORD_0
	v_add_f64 v[59:60], v[59:60], v[80:81]
	v_add_f64 v[57:58], v[57:58], v[73:74]
	v_fma_f64 v[116:117], v[71:72], s[12:13], v[53:54]
	v_fma_f64 v[118:119], v[69:70], s[6:7], v[82:83]
	;; [unrolled: 1-line block ×4, first 2 shown]
	ds_write_b128 v1, v[57:60] offset:23760
	ds_write_b128 v1, v[112:115] offset:25344
	buffer_store_dword v1, off, s[40:43], 0 offset:724 ; 4-byte Folded Spill
	ds_write_b128 v1, v[116:119] offset:26928
	v_add_co_ci_u32_e64 v1, s0, 0, v3, s0
	v_add_co_u32 v2, s0, 0x11e0, v2
	v_add_co_ci_u32_e64 v3, s0, 0, v3, s0
	s_waitcnt lgkmcnt(0)
	s_waitcnt_vscnt null, 0x0
	s_barrier
	buffer_gl0_inv
	s_clause 0x1
	global_load_dwordx4 v[116:119], v[0:1], off offset:480
	global_load_dwordx4 v[112:115], v[2:3], off offset:16
	ds_read_b128 v[0:3], v190 offset:9504
	ds_read_b128 v[4:7], v190 offset:11088
	s_waitcnt vmcnt(1) lgkmcnt(1)
	v_mul_f64 v[8:9], v[2:3], v[118:119]
	v_fma_f64 v[12:13], v[0:1], v[116:117], -v[8:9]
	v_mul_f64 v[0:1], v[0:1], v[118:119]
	v_fma_f64 v[14:15], v[2:3], v[116:117], v[0:1]
	ds_read_b128 v[0:3], v190 offset:19008
	ds_read_b128 v[8:11], v190 offset:20592
	s_waitcnt vmcnt(0) lgkmcnt(1)
	v_mul_f64 v[16:17], v[2:3], v[114:115]
	v_fma_f64 v[16:17], v[0:1], v[112:113], -v[16:17]
	v_mul_f64 v[0:1], v[0:1], v[114:115]
	v_fma_f64 v[18:19], v[2:3], v[112:113], v[0:1]
	v_lshlrev_b32_e32 v0, 5, v192
	v_add_co_u32 v2, s0, s4, v0
	v_add_co_ci_u32_e64 v3, null, s5, 0, s0
	v_add_co_u32 v0, s0, 0x1000, v2
	v_add_co_ci_u32_e64 v1, s0, 0, v3, s0
	v_add_co_u32 v2, s0, 0x11e0, v2
	v_add_co_ci_u32_e64 v3, s0, 0, v3, s0
	s_clause 0x1
	global_load_dwordx4 v[128:131], v[0:1], off offset:480
	global_load_dwordx4 v[120:123], v[2:3], off offset:16
	s_waitcnt vmcnt(1)
	v_mul_f64 v[0:1], v[6:7], v[130:131]
	v_fma_f64 v[20:21], v[4:5], v[128:129], -v[0:1]
	v_mul_f64 v[0:1], v[4:5], v[130:131]
	v_fma_f64 v[22:23], v[6:7], v[128:129], v[0:1]
	s_waitcnt vmcnt(0) lgkmcnt(0)
	v_mul_f64 v[0:1], v[10:11], v[122:123]
	v_fma_f64 v[24:25], v[8:9], v[120:121], -v[0:1]
	v_mul_f64 v[0:1], v[8:9], v[122:123]
	v_fma_f64 v[26:27], v[10:11], v[120:121], v[0:1]
	v_lshlrev_b32_e32 v0, 5, v56
	v_add_co_u32 v2, s0, s4, v0
	v_add_co_ci_u32_e64 v3, null, s5, 0, s0
	v_add_co_u32 v0, s0, 0x1000, v2
	v_add_co_ci_u32_e64 v1, s0, 0, v3, s0
	v_add_co_u32 v2, s0, 0x11e0, v2
	v_add_co_ci_u32_e64 v3, s0, 0, v3, s0
	s_clause 0x1
	global_load_dwordx4 v[132:135], v[0:1], off offset:480
	global_load_dwordx4 v[124:127], v[2:3], off offset:16
	ds_read_b128 v[0:3], v190 offset:12672
	ds_read_b128 v[4:7], v190 offset:14256
	s_waitcnt vmcnt(1) lgkmcnt(1)
	v_mul_f64 v[8:9], v[2:3], v[134:135]
	v_fma_f64 v[32:33], v[0:1], v[132:133], -v[8:9]
	v_mul_f64 v[0:1], v[0:1], v[134:135]
	v_fma_f64 v[34:35], v[2:3], v[132:133], v[0:1]
	ds_read_b128 v[0:3], v190 offset:22176
	ds_read_b128 v[8:11], v190 offset:23760
	s_waitcnt vmcnt(0) lgkmcnt(1)
	v_mul_f64 v[28:29], v[2:3], v[126:127]
	v_fma_f64 v[36:37], v[0:1], v[124:125], -v[28:29]
	v_mul_f64 v[0:1], v[0:1], v[126:127]
	v_add_f64 v[48:49], v[32:33], v[36:37]
	v_fma_f64 v[38:39], v[2:3], v[124:125], v[0:1]
	v_mul_f64 v[0:1], v[6:7], v[118:119]
	v_add_f64 v[50:51], v[34:35], v[38:39]
	v_fma_f64 v[40:41], v[4:5], v[116:117], -v[0:1]
	v_mul_f64 v[0:1], v[4:5], v[118:119]
	v_fma_f64 v[42:43], v[6:7], v[116:117], v[0:1]
	s_waitcnt lgkmcnt(0)
	v_mul_f64 v[0:1], v[10:11], v[114:115]
	v_fma_f64 v[44:45], v[8:9], v[112:113], -v[0:1]
	v_mul_f64 v[0:1], v[8:9], v[114:115]
	v_fma_f64 v[46:47], v[10:11], v[112:113], v[0:1]
	ds_read_b128 v[0:3], v190 offset:15840
	ds_read_b128 v[4:7], v190 offset:17424
	s_waitcnt lgkmcnt(1)
	v_mul_f64 v[8:9], v[2:3], v[130:131]
	v_fma_f64 v[56:57], v[0:1], v[128:129], -v[8:9]
	v_mul_f64 v[0:1], v[0:1], v[130:131]
	v_fma_f64 v[58:59], v[2:3], v[128:129], v[0:1]
	ds_read_b128 v[0:3], v190 offset:25344
	ds_read_b128 v[8:11], v190 offset:26928
	s_waitcnt lgkmcnt(1)
	v_mul_f64 v[28:29], v[2:3], v[122:123]
	v_fma_f64 v[60:61], v[0:1], v[120:121], -v[28:29]
	v_mul_f64 v[0:1], v[0:1], v[122:123]
	v_add_f64 v[72:73], v[56:57], v[60:61]
	v_fma_f64 v[62:63], v[2:3], v[120:121], v[0:1]
	v_mul_f64 v[0:1], v[6:7], v[134:135]
	v_add_f64 v[74:75], v[58:59], v[62:63]
	v_fma_f64 v[64:65], v[4:5], v[132:133], -v[0:1]
	v_mul_f64 v[0:1], v[4:5], v[134:135]
	v_fma_f64 v[66:67], v[6:7], v[132:133], v[0:1]
	s_waitcnt lgkmcnt(0)
	v_mul_f64 v[0:1], v[10:11], v[126:127]
	v_fma_f64 v[68:69], v[8:9], v[124:125], -v[0:1]
	v_mul_f64 v[0:1], v[8:9], v[126:127]
	v_add_f64 v[8:9], v[12:13], v[16:17]
	v_fma_f64 v[70:71], v[10:11], v[124:125], v[0:1]
	ds_read_b128 v[0:3], v190
	ds_read_b128 v[4:7], v190 offset:1584
	s_waitcnt lgkmcnt(1)
	v_fma_f64 v[10:11], v[8:9], -0.5, v[0:1]
	v_add_f64 v[8:9], v[14:15], v[18:19]
	v_add_f64 v[0:1], v[0:1], v[12:13]
	v_fma_f64 v[28:29], v[8:9], -0.5, v[2:3]
	v_add_f64 v[2:3], v[2:3], v[14:15]
	v_add_f64 v[14:15], v[14:15], -v[18:19]
	v_add_f64 v[0:1], v[0:1], v[16:17]
	v_add_f64 v[16:17], v[12:13], -v[16:17]
	v_add_f64 v[2:3], v[2:3], v[18:19]
	v_fma_f64 v[8:9], v[14:15], s[6:7], v[10:11]
	v_fma_f64 v[12:13], v[14:15], s[12:13], v[10:11]
	;; [unrolled: 1-line block ×4, first 2 shown]
	v_add_f64 v[16:17], v[20:21], v[24:25]
	s_waitcnt lgkmcnt(0)
	v_fma_f64 v[18:19], v[16:17], -0.5, v[4:5]
	v_add_f64 v[16:17], v[22:23], v[26:27]
	v_add_f64 v[4:5], v[4:5], v[20:21]
	v_fma_f64 v[28:29], v[16:17], -0.5, v[6:7]
	v_add_f64 v[6:7], v[6:7], v[22:23]
	v_add_f64 v[22:23], v[22:23], -v[26:27]
	v_add_f64 v[4:5], v[4:5], v[24:25]
	v_add_f64 v[24:25], v[20:21], -v[24:25]
	v_add_f64 v[6:7], v[6:7], v[26:27]
	v_fma_f64 v[16:17], v[22:23], s[6:7], v[18:19]
	v_fma_f64 v[20:21], v[22:23], s[12:13], v[18:19]
	;; [unrolled: 1-line block ×4, first 2 shown]
	ds_read_b128 v[24:27], v190 offset:3168
	ds_read_b128 v[28:31], v190 offset:4752
	s_waitcnt lgkmcnt(1)
	v_fma_f64 v[50:51], v[50:51], -0.5, v[26:27]
	v_add_f64 v[26:27], v[26:27], v[34:35]
	v_fma_f64 v[48:49], v[48:49], -0.5, v[24:25]
	v_add_f64 v[24:25], v[24:25], v[32:33]
	v_add_f64 v[34:35], v[34:35], -v[38:39]
	v_add_f64 v[26:27], v[26:27], v[38:39]
	v_add_f64 v[38:39], v[32:33], -v[36:37]
	v_add_f64 v[24:25], v[24:25], v[36:37]
	v_fma_f64 v[32:33], v[34:35], s[6:7], v[48:49]
	v_fma_f64 v[36:37], v[34:35], s[12:13], v[48:49]
	v_add_f64 v[48:49], v[40:41], v[44:45]
	v_fma_f64 v[34:35], v[38:39], s[12:13], v[50:51]
	v_fma_f64 v[38:39], v[38:39], s[6:7], v[50:51]
	v_add_f64 v[50:51], v[42:43], v[46:47]
	s_waitcnt lgkmcnt(0)
	v_fma_f64 v[48:49], v[48:49], -0.5, v[28:29]
	v_add_f64 v[28:29], v[28:29], v[40:41]
	v_fma_f64 v[50:51], v[50:51], -0.5, v[30:31]
	v_add_f64 v[30:31], v[30:31], v[42:43]
	v_add_f64 v[42:43], v[42:43], -v[46:47]
	v_add_f64 v[28:29], v[28:29], v[44:45]
	v_add_f64 v[30:31], v[30:31], v[46:47]
	v_add_f64 v[46:47], v[40:41], -v[44:45]
	v_fma_f64 v[40:41], v[42:43], s[6:7], v[48:49]
	v_fma_f64 v[44:45], v[42:43], s[12:13], v[48:49]
	;; [unrolled: 1-line block ×4, first 2 shown]
	ds_read_b128 v[48:51], v190 offset:6336
	ds_read_b128 v[52:55], v190 offset:7920
	s_waitcnt lgkmcnt(0)
	s_barrier
	buffer_gl0_inv
	v_fma_f64 v[74:75], v[74:75], -0.5, v[50:51]
	v_add_f64 v[50:51], v[50:51], v[58:59]
	v_fma_f64 v[72:73], v[72:73], -0.5, v[48:49]
	v_add_f64 v[48:49], v[48:49], v[56:57]
	v_add_f64 v[58:59], v[58:59], -v[62:63]
	v_add_f64 v[50:51], v[50:51], v[62:63]
	v_add_f64 v[62:63], v[56:57], -v[60:61]
	v_add_f64 v[48:49], v[48:49], v[60:61]
	v_fma_f64 v[56:57], v[58:59], s[6:7], v[72:73]
	v_fma_f64 v[60:61], v[58:59], s[12:13], v[72:73]
	v_add_f64 v[72:73], v[64:65], v[68:69]
	v_fma_f64 v[58:59], v[62:63], s[12:13], v[74:75]
	v_fma_f64 v[62:63], v[62:63], s[6:7], v[74:75]
	v_add_f64 v[74:75], v[66:67], v[70:71]
	v_fma_f64 v[72:73], v[72:73], -0.5, v[52:53]
	v_add_f64 v[52:53], v[52:53], v[64:65]
	v_fma_f64 v[74:75], v[74:75], -0.5, v[54:55]
	v_add_f64 v[54:55], v[54:55], v[66:67]
	v_add_f64 v[66:67], v[66:67], -v[70:71]
	v_add_f64 v[52:53], v[52:53], v[68:69]
	v_add_f64 v[54:55], v[54:55], v[70:71]
	v_add_f64 v[70:71], v[64:65], -v[68:69]
	v_fma_f64 v[64:65], v[66:67], s[6:7], v[72:73]
	v_fma_f64 v[68:69], v[66:67], s[12:13], v[72:73]
	;; [unrolled: 1-line block ×4, first 2 shown]
	ds_write_b128 v190, v[0:3]
	ds_write_b128 v190, v[4:7] offset:1584
	ds_write_b128 v190, v[24:27] offset:3168
	;; [unrolled: 1-line block ×17, first 2 shown]
	v_add_co_u32 v30, s0, s4, v190
	v_add_co_ci_u32_e64 v31, null, s5, 0, s0
	s_waitcnt lgkmcnt(0)
	v_add_co_u32 v0, s0, 0x3000, v30
	v_add_co_ci_u32_e64 v1, s0, 0, v31, s0
	v_add_co_u32 v2, s0, 0x3800, v30
	v_add_co_ci_u32_e64 v3, s0, 0, v31, s0
	s_barrier
	buffer_gl0_inv
	s_clause 0x1
	global_load_dwordx4 v[14:17], v[0:1], off offset:1792
	global_load_dwordx4 v[18:21], v[2:3], off offset:1328
	ds_read_b128 v[0:3], v190 offset:14256
	ds_read_b128 v[8:11], v190 offset:12672
	s_waitcnt vmcnt(1) lgkmcnt(1)
	v_mul_f64 v[4:5], v[2:3], v[16:17]
	v_fma_f64 v[12:13], v[0:1], v[14:15], -v[4:5]
	v_mul_f64 v[0:1], v[0:1], v[16:17]
	buffer_store_dword v14, off, s[40:43], 0 offset:532 ; 4-byte Folded Spill
	buffer_store_dword v15, off, s[40:43], 0 offset:536 ; 4-byte Folded Spill
	;; [unrolled: 1-line block ×4, first 2 shown]
	v_fma_f64 v[14:15], v[2:3], v[14:15], v[0:1]
	ds_read_b128 v[0:3], v190 offset:15840
	ds_read_b128 v[4:7], v190 offset:17424
	s_waitcnt vmcnt(0) lgkmcnt(1)
	v_mul_f64 v[16:17], v[2:3], v[20:21]
	v_fma_f64 v[16:17], v[0:1], v[18:19], -v[16:17]
	v_mul_f64 v[0:1], v[0:1], v[20:21]
	buffer_store_dword v18, off, s[40:43], 0 offset:516 ; 4-byte Folded Spill
	buffer_store_dword v19, off, s[40:43], 0 offset:520 ; 4-byte Folded Spill
	buffer_store_dword v20, off, s[40:43], 0 offset:524 ; 4-byte Folded Spill
	buffer_store_dword v21, off, s[40:43], 0 offset:528 ; 4-byte Folded Spill
	v_fma_f64 v[18:19], v[2:3], v[18:19], v[0:1]
	v_add_co_u32 v0, s0, 0x4000, v30
	v_add_co_ci_u32_e64 v1, s0, 0, v31, s0
	v_add_co_u32 v20, s0, 0x4800, v30
	v_add_co_ci_u32_e64 v21, s0, 0, v31, s0
	s_clause 0x1
	global_load_dwordx4 v[200:203], v[0:1], off offset:864
	global_load_dwordx4 v[192:195], v[20:21], off offset:400
	s_waitcnt vmcnt(1) lgkmcnt(0)
	v_mul_f64 v[0:1], v[6:7], v[202:203]
	v_fma_f64 v[22:23], v[4:5], v[200:201], -v[0:1]
	v_mul_f64 v[0:1], v[4:5], v[202:203]
	v_fma_f64 v[24:25], v[6:7], v[200:201], v[0:1]
	ds_read_b128 v[0:3], v190 offset:19008
	ds_read_b128 v[4:7], v190 offset:20592
	s_waitcnt vmcnt(0) lgkmcnt(1)
	v_mul_f64 v[26:27], v[2:3], v[194:195]
	v_fma_f64 v[26:27], v[0:1], v[192:193], -v[26:27]
	v_mul_f64 v[0:1], v[0:1], v[194:195]
	v_fma_f64 v[54:55], v[2:3], v[192:193], v[0:1]
	v_add_co_u32 v0, s0, 0x5000, v30
	v_add_co_ci_u32_e64 v1, s0, 0, v31, s0
	s_clause 0x1
	global_load_dwordx4 v[204:207], v[20:21], off offset:1984
	global_load_dwordx4 v[196:199], v[0:1], off offset:1520
	s_waitcnt vmcnt(1) lgkmcnt(0)
	v_mul_f64 v[0:1], v[6:7], v[206:207]
	v_fma_f64 v[20:21], v[4:5], v[204:205], -v[0:1]
	v_mul_f64 v[0:1], v[4:5], v[206:207]
	v_fma_f64 v[62:63], v[6:7], v[204:205], v[0:1]
	ds_read_b128 v[0:3], v190 offset:22176
	ds_read_b128 v[4:7], v190 offset:23760
	s_waitcnt vmcnt(0) lgkmcnt(1)
	v_mul_f64 v[28:29], v[2:3], v[198:199]
	v_fma_f64 v[68:69], v[0:1], v[196:197], -v[28:29]
	v_mul_f64 v[0:1], v[0:1], v[198:199]
	v_fma_f64 v[70:71], v[2:3], v[196:197], v[0:1]
	v_add_co_u32 v0, s0, 0x5800, v30
	v_add_co_ci_u32_e64 v1, s0, 0, v31, s0
	v_add_co_u32 v2, s0, 0x6000, v30
	v_add_co_ci_u32_e64 v3, s0, 0, v31, s0
	s_clause 0x1
	global_load_dwordx4 v[212:215], v[0:1], off offset:1056
	global_load_dwordx4 v[208:211], v[2:3], off offset:592
	s_waitcnt vmcnt(1) lgkmcnt(0)
	v_mul_f64 v[0:1], v[6:7], v[214:215]
	v_fma_f64 v[72:73], v[4:5], v[212:213], -v[0:1]
	v_mul_f64 v[0:1], v[4:5], v[214:215]
	v_fma_f64 v[74:75], v[6:7], v[212:213], v[0:1]
	ds_read_b128 v[0:3], v190 offset:25344
	ds_read_b128 v[4:7], v190 offset:26928
	s_waitcnt vmcnt(0) lgkmcnt(1)
	v_mul_f64 v[28:29], v[2:3], v[210:211]
	v_fma_f64 v[80:81], v[0:1], v[208:209], -v[28:29]
	v_mul_f64 v[0:1], v[0:1], v[210:211]
	v_fma_f64 v[82:83], v[2:3], v[208:209], v[0:1]
	v_add_co_u32 v0, s0, 0x6800, v30
	v_add_co_ci_u32_e64 v1, s0, 0, v31, s0
	global_load_dwordx4 v[216:219], v[0:1], off offset:128
	s_waitcnt vmcnt(0) lgkmcnt(0)
	v_mul_f64 v[0:1], v[6:7], v[218:219]
	v_fma_f64 v[84:85], v[4:5], v[216:217], -v[0:1]
	v_mul_f64 v[0:1], v[4:5], v[218:219]
	v_fma_f64 v[86:87], v[6:7], v[216:217], v[0:1]
	ds_read_b128 v[0:3], v190
	ds_read_b128 v[4:7], v190 offset:1584
	s_waitcnt lgkmcnt(1)
	v_add_f64 v[28:29], v[0:1], -v[12:13]
	v_add_f64 v[30:31], v[2:3], -v[14:15]
	s_waitcnt lgkmcnt(0)
	v_add_f64 v[36:37], v[4:5], -v[16:17]
	v_add_f64 v[38:39], v[6:7], -v[18:19]
	v_fma_f64 v[32:33], v[0:1], 2.0, -v[28:29]
	v_fma_f64 v[34:35], v[2:3], 2.0, -v[30:31]
	;; [unrolled: 1-line block ×4, first 2 shown]
	ds_read_b128 v[0:3], v190 offset:3168
	ds_read_b128 v[4:7], v190 offset:4752
	s_waitcnt lgkmcnt(1)
	v_add_f64 v[44:45], v[0:1], -v[22:23]
	v_add_f64 v[46:47], v[2:3], -v[24:25]
	s_waitcnt lgkmcnt(0)
	v_add_f64 v[52:53], v[4:5], -v[26:27]
	v_add_f64 v[54:55], v[6:7], -v[54:55]
	v_fma_f64 v[48:49], v[0:1], 2.0, -v[44:45]
	v_fma_f64 v[50:51], v[2:3], 2.0, -v[46:47]
	;; [unrolled: 1-line block ×4, first 2 shown]
	ds_read_b128 v[0:3], v190 offset:6336
	ds_read_b128 v[4:7], v190 offset:7920
	s_waitcnt lgkmcnt(1)
	v_add_f64 v[60:61], v[0:1], -v[20:21]
	v_add_f64 v[62:63], v[2:3], -v[62:63]
	v_fma_f64 v[64:65], v[0:1], 2.0, -v[60:61]
	v_fma_f64 v[66:67], v[2:3], 2.0, -v[62:63]
	s_waitcnt lgkmcnt(0)
	v_add_f64 v[0:1], v[4:5], -v[68:69]
	v_add_f64 v[2:3], v[6:7], -v[70:71]
	v_fma_f64 v[68:69], v[4:5], 2.0, -v[0:1]
	v_fma_f64 v[70:71], v[6:7], 2.0, -v[2:3]
	ds_read_b128 v[4:7], v190 offset:9504
	ds_read_b128 v[16:19], v190 offset:11088
	ds_write_b128 v190, v[28:31] offset:14256
	ds_write_b128 v190, v[36:39] offset:15840
	;; [unrolled: 1-line block ×5, first 2 shown]
	ds_write_b128 v190, v[32:35]
	ds_write_b128 v190, v[40:43] offset:1584
	ds_write_b128 v190, v[48:51] offset:3168
	;; [unrolled: 1-line block ×5, first 2 shown]
	v_add_co_u32 v28, s0, 0x6800, v88
	v_add_co_ci_u32_e64 v29, s0, 0, v89, s0
	s_waitcnt lgkmcnt(12)
	v_add_f64 v[12:13], v[4:5], -v[72:73]
	v_add_f64 v[14:15], v[6:7], -v[74:75]
	s_waitcnt lgkmcnt(11)
	v_add_f64 v[20:21], v[16:17], -v[80:81]
	v_add_f64 v[22:23], v[18:19], -v[82:83]
	v_fma_f64 v[24:25], v[4:5], 2.0, -v[12:13]
	v_fma_f64 v[26:27], v[6:7], 2.0, -v[14:15]
	v_add_f64 v[4:5], v[8:9], -v[84:85]
	v_add_f64 v[6:7], v[10:11], -v[86:87]
	v_fma_f64 v[16:17], v[16:17], 2.0, -v[20:21]
	v_fma_f64 v[18:19], v[18:19], 2.0, -v[22:23]
	v_fma_f64 v[8:9], v[8:9], 2.0, -v[4:5]
	v_fma_f64 v[10:11], v[10:11], 2.0, -v[6:7]
	ds_write_b128 v190, v[0:3] offset:22176
	ds_write_b128 v190, v[12:15] offset:23760
	;; [unrolled: 1-line block ×7, first 2 shown]
	s_waitcnt lgkmcnt(0)
	s_waitcnt_vscnt null, 0x0
	s_barrier
	buffer_gl0_inv
	buffer_store_dword v28, off, s[40:43], 0 offset:760 ; 4-byte Folded Spill
	buffer_store_dword v29, off, s[40:43], 0 offset:764 ; 4-byte Folded Spill
	global_load_dwordx4 v[28:31], v[28:29], off offset:1888
	ds_read_b128 v[32:35], v190
	ds_read_b128 v[36:39], v190 offset:2592
	s_waitcnt vmcnt(0) lgkmcnt(1)
	v_mul_f64 v[40:41], v[34:35], v[30:31]
	v_mul_f64 v[42:43], v[32:33], v[30:31]
	v_fma_f64 v[30:31], v[32:33], v[28:29], -v[40:41]
	v_fma_f64 v[32:33], v[34:35], v[28:29], v[42:43]
	v_add_co_u32 v28, s0, 0x7800, v88
	v_add_co_ci_u32_e64 v29, s0, 0, v89, s0
	v_add_co_u32 v34, s0, 0x8000, v88
	v_add_co_ci_u32_e64 v35, s0, 0, v89, s0
	s_clause 0x1
	global_load_dwordx4 v[40:43], v[28:29], off offset:384
	global_load_dwordx4 v[44:47], v[34:35], off offset:928
	s_waitcnt vmcnt(1) lgkmcnt(0)
	v_mul_f64 v[28:29], v[38:39], v[42:43]
	v_mul_f64 v[42:43], v[36:37], v[42:43]
	v_fma_f64 v[34:35], v[36:37], v[40:41], -v[28:29]
	v_fma_f64 v[36:37], v[38:39], v[40:41], v[42:43]
	ds_read_b128 v[38:41], v190 offset:5184
	ds_read_b128 v[48:51], v190 offset:7776
	s_waitcnt vmcnt(0) lgkmcnt(1)
	v_mul_f64 v[28:29], v[40:41], v[46:47]
	v_mul_f64 v[42:43], v[38:39], v[46:47]
	v_fma_f64 v[38:39], v[38:39], v[44:45], -v[28:29]
	v_add_co_u32 v28, s0, 0x8800, v88
	v_add_co_ci_u32_e64 v29, s0, 0, v89, s0
	v_add_co_u32 v46, s0, 0x9000, v88
	v_add_co_ci_u32_e64 v47, s0, 0, v89, s0
	v_fma_f64 v[40:41], v[40:41], v[44:45], v[42:43]
	s_clause 0x1
	global_load_dwordx4 v[42:45], v[28:29], off offset:1472
	global_load_dwordx4 v[52:55], v[46:47], off offset:2016
	s_waitcnt vmcnt(1) lgkmcnt(0)
	v_mul_f64 v[28:29], v[50:51], v[44:45]
	v_mul_f64 v[46:47], v[48:49], v[44:45]
	v_fma_f64 v[44:45], v[48:49], v[42:43], -v[28:29]
	v_fma_f64 v[46:47], v[50:51], v[42:43], v[46:47]
	ds_read_b128 v[48:51], v190 offset:10368
	ds_read_b128 v[56:59], v190 offset:12960
	s_waitcnt vmcnt(0) lgkmcnt(1)
	v_mul_f64 v[28:29], v[50:51], v[54:55]
	v_mul_f64 v[42:43], v[48:49], v[54:55]
	v_fma_f64 v[48:49], v[48:49], v[52:53], -v[28:29]
	v_add_co_u32 v28, s0, 0xa000, v88
	v_add_co_ci_u32_e64 v29, s0, 0, v89, s0
	v_fma_f64 v[50:51], v[50:51], v[52:53], v[42:43]
	v_add_co_u32 v42, s0, 0xa800, v88
	v_add_co_ci_u32_e64 v43, s0, 0, v89, s0
	s_clause 0x1
	global_load_dwordx4 v[52:55], v[28:29], off offset:512
	global_load_dwordx4 v[60:63], v[42:43], off offset:1056
	ds_read_b128 v[64:67], v190 offset:15552
	ds_read_b128 v[68:71], v190 offset:18144
	s_waitcnt vmcnt(1) lgkmcnt(2)
	v_mul_f64 v[28:29], v[58:59], v[54:55]
	v_mul_f64 v[42:43], v[56:57], v[54:55]
	v_fma_f64 v[54:55], v[56:57], v[52:53], -v[28:29]
	s_waitcnt vmcnt(0) lgkmcnt(1)
	v_mul_f64 v[28:29], v[66:67], v[62:63]
	v_fma_f64 v[56:57], v[58:59], v[52:53], v[42:43]
	v_mul_f64 v[42:43], v[64:65], v[62:63]
	v_fma_f64 v[58:59], v[64:65], v[60:61], -v[28:29]
	v_add_co_u32 v28, s0, 0xb000, v88
	v_add_co_ci_u32_e64 v29, s0, 0, v89, s0
	v_fma_f64 v[60:61], v[66:67], v[60:61], v[42:43]
	v_add_co_u32 v42, s0, 0xc000, v88
	v_add_co_ci_u32_e64 v43, s0, 0, v89, s0
	s_clause 0x1
	global_load_dwordx4 v[62:65], v[28:29], off offset:1600
	global_load_dwordx4 v[80:83], v[42:43], off offset:96
	s_waitcnt vmcnt(1) lgkmcnt(0)
	v_mul_f64 v[28:29], v[70:71], v[64:65]
	v_mul_f64 v[42:43], v[68:69], v[64:65]
	v_fma_f64 v[64:65], v[68:69], v[62:63], -v[28:29]
	v_fma_f64 v[66:67], v[70:71], v[62:63], v[42:43]
	ds_read_b128 v[68:71], v190 offset:20736
	ds_read_b128 v[84:87], v190 offset:23328
	s_waitcnt vmcnt(0) lgkmcnt(1)
	v_mul_f64 v[28:29], v[70:71], v[82:83]
	v_mul_f64 v[42:43], v[68:69], v[82:83]
	v_fma_f64 v[68:69], v[68:69], v[80:81], -v[28:29]
	v_add_co_u32 v28, s0, 0xc800, v88
	v_add_co_ci_u32_e64 v29, s0, 0, v89, s0
	v_fma_f64 v[70:71], v[70:71], v[80:81], v[42:43]
	v_add_co_u32 v42, s0, 0xd000, v88
	v_add_co_ci_u32_e64 v43, s0, 0, v89, s0
	s_clause 0x1
	global_load_dwordx4 v[80:83], v[28:29], off offset:640
	global_load_dwordx4 v[72:75], v[42:43], off offset:1184
	ds_read_b128 v[90:93], v190 offset:25920
	s_waitcnt vmcnt(1) lgkmcnt(1)
	v_mul_f64 v[28:29], v[86:87], v[82:83]
	v_mul_f64 v[42:43], v[84:85], v[82:83]
	v_fma_f64 v[82:83], v[84:85], v[80:81], -v[28:29]
	v_fma_f64 v[84:85], v[86:87], v[80:81], v[42:43]
	s_waitcnt vmcnt(0) lgkmcnt(0)
	v_mul_f64 v[28:29], v[92:93], v[74:75]
	v_mul_f64 v[42:43], v[90:91], v[74:75]
	v_fma_f64 v[90:91], v[90:91], v[72:73], -v[28:29]
	v_fma_f64 v[92:93], v[92:93], v[72:73], v[42:43]
	ds_write_b128 v190, v[30:33]
	ds_write_b128 v190, v[34:37] offset:2592
	ds_write_b128 v190, v[38:41] offset:5184
	;; [unrolled: 1-line block ×10, first 2 shown]
	s_and_saveexec_b32 s1, vcc_lo
	s_cbranch_execz .LBB0_9
; %bb.8:
	v_add_co_u32 v64, s0, 0x6f60, v88
	v_add_co_ci_u32_e64 v65, s0, 0, v89, s0
	v_add_co_u32 v32, s0, 0x1000, v64
	v_add_co_ci_u32_e64 v33, s0, 0, v65, s0
	;; [unrolled: 2-line block ×4, first 2 shown]
	v_add_co_u32 v44, s0, 0x2800, v64
	s_clause 0x1
	global_load_dwordx4 v[28:31], v[64:65], off offset:1584
	global_load_dwordx4 v[32:35], v[32:33], off offset:80
	v_add_co_ci_u32_e64 v45, s0, 0, v65, s0
	v_add_co_u32 v48, s0, 0x3800, v64
	v_add_co_ci_u32_e64 v49, s0, 0, v65, s0
	v_add_co_u32 v52, s0, 0x4000, v64
	;; [unrolled: 2-line block ×6, first 2 shown]
	v_add_co_ci_u32_e64 v69, s0, 0, v65, s0
	s_clause 0x8
	global_load_dwordx4 v[36:39], v[36:37], off offset:624
	global_load_dwordx4 v[40:43], v[40:41], off offset:1168
	;; [unrolled: 1-line block ×9, first 2 shown]
	ds_read_b128 v[72:75], v190 offset:1584
	ds_read_b128 v[80:83], v190 offset:4176
	;; [unrolled: 1-line block ×11, first 2 shown]
	s_waitcnt vmcnt(10) lgkmcnt(10)
	v_mul_f64 v[188:189], v[74:75], v[30:31]
	v_mul_f64 v[30:31], v[72:73], v[30:31]
	s_waitcnt vmcnt(9) lgkmcnt(9)
	v_mul_f64 v[106:107], v[82:83], v[34:35]
	v_mul_f64 v[34:35], v[80:81], v[34:35]
	v_fma_f64 v[72:73], v[72:73], v[28:29], -v[188:189]
	s_waitcnt vmcnt(8) lgkmcnt(8)
	v_mul_f64 v[152:153], v[86:87], v[38:39]
	v_mul_f64 v[38:39], v[84:85], v[38:39]
	s_waitcnt vmcnt(7) lgkmcnt(7)
	v_mul_f64 v[154:155], v[92:93], v[42:43]
	v_mul_f64 v[42:43], v[90:91], v[42:43]
	;; [unrolled: 3-line block ×8, first 2 shown]
	v_fma_f64 v[74:75], v[74:75], v[28:29], v[30:31]
	v_fma_f64 v[28:29], v[80:81], v[32:33], -v[106:107]
	s_waitcnt vmcnt(0) lgkmcnt(0)
	v_mul_f64 v[80:81], v[150:151], v[70:71]
	v_mul_f64 v[70:71], v[148:149], v[70:71]
	v_fma_f64 v[30:31], v[82:83], v[32:33], v[34:35]
	v_fma_f64 v[32:33], v[84:85], v[36:37], -v[152:153]
	v_fma_f64 v[34:35], v[86:87], v[36:37], v[38:39]
	v_fma_f64 v[36:37], v[90:91], v[40:41], -v[154:155]
	;; [unrolled: 2-line block ×9, first 2 shown]
	v_fma_f64 v[66:67], v[150:151], v[68:69], v[70:71]
	ds_write_b128 v190, v[72:75] offset:1584
	ds_write_b128 v190, v[28:31] offset:4176
	;; [unrolled: 1-line block ×11, first 2 shown]
.LBB0_9:
	s_or_b32 exec_lo, exec_lo, s1
	s_waitcnt lgkmcnt(0)
	s_waitcnt_vscnt null, 0x0
	s_barrier
	buffer_gl0_inv
	ds_read_b128 v[52:55], v190
	ds_read_b128 v[68:71], v190 offset:2592
	ds_read_b128 v[64:67], v190 offset:5184
	;; [unrolled: 1-line block ×10, first 2 shown]
	s_and_saveexec_b32 s0, vcc_lo
	s_cbranch_execz .LBB0_11
; %bb.10:
	ds_read_b128 v[0:3], v190 offset:1584
	ds_read_b128 v[24:27], v190 offset:4176
	;; [unrolled: 1-line block ×8, first 2 shown]
	s_waitcnt lgkmcnt(0)
	buffer_store_dword v72, off, s[40:43], 0 offset:48 ; 4-byte Folded Spill
	buffer_store_dword v73, off, s[40:43], 0 offset:52 ; 4-byte Folded Spill
	buffer_store_dword v74, off, s[40:43], 0 offset:56 ; 4-byte Folded Spill
	buffer_store_dword v75, off, s[40:43], 0 offset:60 ; 4-byte Folded Spill
	ds_read_b128 v[72:75], v190 offset:22320
	s_waitcnt lgkmcnt(0)
	buffer_store_dword v72, off, s[40:43], 0 offset:32 ; 4-byte Folded Spill
	buffer_store_dword v73, off, s[40:43], 0 offset:36 ; 4-byte Folded Spill
	buffer_store_dword v74, off, s[40:43], 0 offset:40 ; 4-byte Folded Spill
	buffer_store_dword v75, off, s[40:43], 0 offset:44 ; 4-byte Folded Spill
	ds_read_b128 v[72:75], v190 offset:24912
	;; [unrolled: 6-line block ×3, first 2 shown]
	s_waitcnt lgkmcnt(0)
	buffer_store_dword v72, off, s[40:43], 0 ; 4-byte Folded Spill
	buffer_store_dword v73, off, s[40:43], 0 offset:4 ; 4-byte Folded Spill
	buffer_store_dword v74, off, s[40:43], 0 offset:8 ; 4-byte Folded Spill
	;; [unrolled: 1-line block ×3, first 2 shown]
.LBB0_11:
	s_or_b32 exec_lo, exec_lo, s0
	s_waitcnt lgkmcnt(9)
	v_add_f64 v[72:73], v[52:53], v[68:69]
	v_add_f64 v[74:75], v[54:55], v[70:71]
	s_waitcnt lgkmcnt(0)
	v_add_f64 v[82:83], v[70:71], v[30:31]
	v_add_f64 v[70:71], v[70:71], -v[30:31]
	s_mov_b32 s16, 0xf8bb580b
	s_mov_b32 s0, 0x8764f0ba
	;; [unrolled: 1-line block ×8, first 2 shown]
	v_add_f64 v[80:81], v[68:69], v[28:29]
	v_add_f64 v[68:69], v[68:69], -v[28:29]
	v_add_f64 v[86:87], v[66:67], v[50:51]
	s_mov_b32 s30, 0x43842ef
	s_mov_b32 s22, 0x640f44db
	s_mov_b32 s28, 0xbb3a28a1
	s_mov_b32 s20, 0x7f775887
	s_mov_b32 s24, 0xfd768dbf
	s_mov_b32 s18, 0x9bcd5057
	s_mov_b32 s5, 0x3fe14ced
	v_add_f64 v[72:73], v[72:73], v[64:65]
	v_add_f64 v[74:75], v[74:75], v[66:67]
	v_add_f64 v[66:67], v[66:67], -v[50:51]
	v_mul_f64 v[94:95], v[70:71], s[16:17]
	v_mul_f64 v[96:97], v[82:83], s[0:1]
	v_mul_f64 v[98:99], v[70:71], s[14:15]
	v_mul_f64 v[100:101], v[82:83], s[6:7]
	s_mov_b32 s13, 0x3fed1bb4
	s_mov_b32 s31, 0xbfefac9e
	;; [unrolled: 1-line block ×9, first 2 shown]
	v_add_f64 v[84:85], v[64:65], v[48:49]
	v_add_f64 v[64:65], v[64:65], -v[48:49]
	v_add_f64 v[92:93], v[62:63], v[58:59]
	v_mul_f64 v[102:103], v[70:71], s[30:31]
	v_mul_f64 v[104:105], v[82:83], s[22:23]
	v_mul_f64 v[106:107], v[70:71], s[28:29]
	v_add_f64 v[72:73], v[72:73], v[60:61]
	v_add_f64 v[74:75], v[74:75], v[62:63]
	v_add_f64 v[62:63], v[62:63], -v[58:59]
	v_mul_f64 v[136:137], v[82:83], s[20:21]
	v_mul_f64 v[70:71], v[70:71], s[24:25]
	;; [unrolled: 1-line block ×7, first 2 shown]
	v_fma_f64 v[158:159], v[80:81], s[0:1], v[94:95]
	v_fma_f64 v[160:161], v[68:69], s[4:5], v[96:97]
	v_fma_f64 v[94:95], v[80:81], s[0:1], -v[94:95]
	v_fma_f64 v[96:97], v[68:69], s[16:17], v[96:97]
	v_fma_f64 v[162:163], v[80:81], s[6:7], v[98:99]
	;; [unrolled: 1-line block ×4, first 2 shown]
	v_fma_f64 v[98:99], v[80:81], s[6:7], -v[98:99]
	s_mov_b32 s27, 0x3fefac9e
	s_mov_b32 s37, 0x3fe82f19
	;; [unrolled: 1-line block ×4, first 2 shown]
	v_add_f64 v[72:73], v[72:73], v[40:41]
	v_add_f64 v[74:75], v[74:75], v[42:43]
	s_mov_b32 s36, s28
	s_mov_b32 s34, s24
	v_add_f64 v[90:91], v[60:61], v[56:57]
	v_add_f64 v[60:61], v[60:61], -v[56:57]
	v_mul_f64 v[146:147], v[66:67], s[34:35]
	v_mul_f64 v[148:149], v[86:87], s[18:19]
	;; [unrolled: 1-line block ×8, first 2 shown]
	v_fma_f64 v[166:167], v[80:81], s[22:23], v[102:103]
	v_fma_f64 v[188:189], v[68:69], s[26:27], v[104:105]
	v_fma_f64 v[102:103], v[80:81], s[22:23], -v[102:103]
	v_fma_f64 v[104:105], v[68:69], s[30:31], v[104:105]
	v_fma_f64 v[168:169], v[80:81], s[20:21], v[106:107]
	;; [unrolled: 1-line block ×3, first 2 shown]
	v_fma_f64 v[106:107], v[80:81], s[20:21], -v[106:107]
	v_fma_f64 v[136:137], v[68:69], s[28:29], v[136:137]
	v_add_f64 v[72:73], v[72:73], v[32:33]
	v_add_f64 v[74:75], v[74:75], v[34:35]
	v_fma_f64 v[172:173], v[80:81], s[18:19], v[70:71]
	v_fma_f64 v[174:175], v[68:69], s[34:35], v[82:83]
	v_fma_f64 v[70:71], v[80:81], s[18:19], -v[70:71]
	v_fma_f64 v[68:69], v[68:69], s[24:25], v[82:83]
	v_fma_f64 v[80:81], v[84:85], s[6:7], v[138:139]
	;; [unrolled: 1-line block ×3, first 2 shown]
	v_fma_f64 v[138:139], v[84:85], s[6:7], -v[138:139]
	v_fma_f64 v[140:141], v[64:65], s[14:15], v[140:141]
	v_fma_f64 v[176:177], v[84:85], s[20:21], v[142:143]
	;; [unrolled: 1-line block ×4, first 2 shown]
	v_add_f64 v[158:159], v[52:53], v[158:159]
	v_add_f64 v[160:161], v[54:55], v[160:161]
	;; [unrolled: 1-line block ×7, first 2 shown]
	v_fma_f64 v[142:143], v[84:85], s[20:21], -v[142:143]
	v_add_f64 v[98:99], v[52:53], v[98:99]
	v_add_f64 v[72:73], v[72:73], v[36:37]
	;; [unrolled: 1-line block ×3, first 2 shown]
	v_fma_f64 v[180:181], v[84:85], s[18:19], v[146:147]
	v_fma_f64 v[146:147], v[84:85], s[18:19], -v[146:147]
	v_add_f64 v[166:167], v[52:53], v[166:167]
	v_add_f64 v[182:183], v[54:55], v[188:189]
	;; [unrolled: 1-line block ×12, first 2 shown]
	v_fma_f64 v[68:69], v[84:85], s[22:23], v[150:151]
	v_fma_f64 v[70:71], v[84:85], s[22:23], -v[150:151]
	v_fma_f64 v[150:151], v[84:85], s[0:1], v[66:67]
	v_fma_f64 v[66:67], v[84:85], s[0:1], -v[66:67]
	v_fma_f64 v[84:85], v[64:65], s[24:25], v[148:149]
	v_fma_f64 v[148:149], v[64:65], s[34:35], v[148:149]
	v_add_f64 v[72:73], v[72:73], v[44:45]
	v_add_f64 v[74:75], v[74:75], v[46:47]
	;; [unrolled: 1-line block ×3, first 2 shown]
	v_mul_f64 v[158:159], v[92:93], s[18:19]
	v_add_f64 v[82:83], v[82:83], v[160:161]
	v_add_f64 v[160:161], v[42:43], v[46:47]
	;; [unrolled: 1-line block ×3, first 2 shown]
	v_add_f64 v[42:43], v[42:43], -v[46:47]
	v_add_f64 v[46:47], v[140:141], v[96:97]
	v_mul_f64 v[96:97], v[62:63], s[12:13]
	v_add_f64 v[138:139], v[176:177], v[162:163]
	v_mul_f64 v[140:141], v[92:93], s[6:7]
	v_add_f64 v[162:163], v[178:179], v[164:165]
	v_fma_f64 v[164:165], v[90:91], s[22:23], v[154:155]
	v_add_f64 v[100:101], v[144:145], v[100:101]
	v_fma_f64 v[144:145], v[60:61], s[26:27], v[156:157]
	v_add_f64 v[98:99], v[142:143], v[98:99]
	v_mul_f64 v[142:143], v[62:63], s[16:17]
	v_fma_f64 v[154:155], v[90:91], s[22:23], -v[154:155]
	v_mul_f64 v[176:177], v[92:93], s[0:1]
	v_add_f64 v[84:85], v[84:85], v[182:183]
	v_add_f64 v[52:53], v[66:67], v[52:53]
	;; [unrolled: 1-line block ×4, first 2 shown]
	v_fma_f64 v[72:73], v[64:65], s[30:31], v[152:153]
	v_fma_f64 v[74:75], v[64:65], s[26:27], v[152:153]
	;; [unrolled: 1-line block ×4, first 2 shown]
	v_mul_f64 v[86:87], v[62:63], s[34:35]
	v_mul_f64 v[62:63], v[62:63], s[28:29]
	v_add_f64 v[102:103], v[146:147], v[102:103]
	v_fma_f64 v[156:157], v[60:61], s[30:31], v[156:157]
	v_add_f64 v[104:105], v[148:149], v[104:105]
	v_add_f64 v[68:69], v[68:69], v[168:169]
	;; [unrolled: 1-line block ×3, first 2 shown]
	v_fma_f64 v[146:147], v[60:61], s[24:25], v[158:159]
	v_add_f64 v[106:107], v[150:151], v[172:173]
	v_add_f64 v[66:67], v[144:145], v[82:83]
	v_fma_f64 v[82:83], v[60:61], s[14:15], v[140:141]
	v_mul_f64 v[144:145], v[160:161], s[20:21]
	v_fma_f64 v[148:149], v[90:91], s[0:1], v[142:143]
	v_add_f64 v[94:95], v[154:155], v[94:95]
	v_mul_f64 v[154:155], v[160:161], s[22:23]
	v_fma_f64 v[142:143], v[90:91], s[0:1], -v[142:143]
	v_add_f64 v[48:49], v[56:57], v[48:49]
	v_add_f64 v[50:51], v[58:59], v[50:51]
	v_fma_f64 v[58:59], v[60:61], s[34:35], v[158:159]
	v_add_f64 v[74:75], v[74:75], v[136:137]
	v_add_f64 v[136:137], v[152:153], v[174:175]
	;; [unrolled: 1-line block ×3, first 2 shown]
	v_fma_f64 v[178:179], v[90:91], s[18:19], v[86:87]
	v_add_f64 v[64:65], v[164:165], v[80:81]
	v_fma_f64 v[56:57], v[90:91], s[18:19], -v[86:87]
	v_fma_f64 v[80:81], v[90:91], s[6:7], v[96:97]
	v_mul_f64 v[86:87], v[92:93], s[20:21]
	v_fma_f64 v[92:93], v[90:91], s[6:7], -v[96:97]
	v_fma_f64 v[96:97], v[60:61], s[12:13], v[140:141]
	v_add_f64 v[140:141], v[40:41], v[44:45]
	v_add_f64 v[40:41], v[40:41], -v[44:45]
	v_mul_f64 v[44:45], v[42:43], s[28:29]
	v_mul_f64 v[152:153], v[42:43], s[26:27]
	v_add_f64 v[72:73], v[72:73], v[170:171]
	v_fma_f64 v[150:151], v[60:61], s[4:5], v[176:177]
	v_add_f64 v[82:83], v[82:83], v[84:85]
	v_fma_f64 v[84:85], v[90:91], s[20:21], v[62:63]
	v_add_f64 v[166:167], v[180:181], v[166:167]
	v_add_f64 v[46:47], v[156:157], v[46:47]
	v_fma_f64 v[62:63], v[90:91], s[20:21], -v[62:63]
	v_add_f64 v[58:59], v[58:59], v[100:101]
	v_add_f64 v[68:69], v[148:149], v[68:69]
	;; [unrolled: 1-line block ×7, first 2 shown]
	v_fma_f64 v[98:99], v[60:61], s[16:17], v[176:177]
	v_fma_f64 v[100:101], v[60:61], s[36:37], v[86:87]
	;; [unrolled: 1-line block ×3, first 2 shown]
	v_add_f64 v[92:93], v[92:93], v[102:103]
	v_mul_f64 v[102:103], v[42:43], s[16:17]
	v_add_f64 v[96:97], v[96:97], v[104:105]
	v_fma_f64 v[86:87], v[140:141], s[20:21], v[44:45]
	v_fma_f64 v[90:91], v[40:41], s[36:37], v[144:145]
	;; [unrolled: 1-line block ×3, first 2 shown]
	v_mul_f64 v[144:145], v[160:161], s[0:1]
	v_fma_f64 v[44:45], v[140:141], s[20:21], -v[44:45]
	v_fma_f64 v[148:149], v[140:141], s[22:23], v[152:153]
	v_fma_f64 v[142:143], v[140:141], s[22:23], -v[152:153]
	v_fma_f64 v[152:153], v[40:41], s[26:27], v[154:155]
	v_add_f64 v[72:73], v[150:151], v[72:73]
	v_fma_f64 v[150:151], v[40:41], s[30:31], v[154:155]
	v_mul_f64 v[154:155], v[160:161], s[18:19]
	v_add_f64 v[84:85], v[84:85], v[106:107]
	v_mul_f64 v[106:107], v[160:161], s[6:7]
	v_add_f64 v[80:81], v[80:81], v[166:167]
	v_add_f64 v[52:53], v[62:63], v[52:53]
	;; [unrolled: 1-line block ×4, first 2 shown]
	v_mul_f64 v[98:99], v[42:43], s[24:25]
	v_mul_f64 v[42:43], v[42:43], s[12:13]
	v_add_f64 v[54:55], v[60:61], v[54:55]
	v_add_f64 v[100:101], v[100:101], v[136:137]
	s_waitcnt_vscnt null, 0x0
	v_add_f64 v[60:61], v[86:87], v[64:65]
	v_add_f64 v[64:65], v[34:35], -v[38:39]
	v_add_f64 v[34:35], v[34:35], v[38:39]
	v_fma_f64 v[38:39], v[140:141], s[0:1], v[102:103]
	v_add_f64 v[86:87], v[104:105], v[46:47]
	v_fma_f64 v[46:47], v[40:41], s[4:5], v[144:145]
	v_add_f64 v[44:45], v[44:45], v[94:95]
	v_fma_f64 v[94:95], v[140:141], s[0:1], -v[102:103]
	v_add_f64 v[102:103], v[152:153], v[58:59]
	v_fma_f64 v[58:59], v[40:41], s[16:17], v[144:145]
	v_add_f64 v[62:63], v[90:91], v[66:67]
	v_add_f64 v[66:67], v[148:149], v[138:139]
	;; [unrolled: 1-line block ×3, first 2 shown]
	v_fma_f64 v[136:137], v[40:41], s[34:35], v[154:155]
	v_fma_f64 v[138:139], v[40:41], s[24:25], v[154:155]
	;; [unrolled: 1-line block ×5, first 2 shown]
	v_fma_f64 v[98:99], v[140:141], s[18:19], -v[98:99]
	v_fma_f64 v[142:143], v[140:141], s[6:7], v[42:43]
	v_fma_f64 v[42:43], v[140:141], s[6:7], -v[42:43]
	v_add_f64 v[106:107], v[32:33], v[36:37]
	v_add_f64 v[32:33], v[32:33], -v[36:37]
	v_mul_f64 v[36:37], v[64:65], s[24:25]
	v_mul_f64 v[140:141], v[34:35], s[18:19]
	v_add_f64 v[90:91], v[150:151], v[146:147]
	v_add_f64 v[38:39], v[38:39], v[80:81]
	v_mul_f64 v[80:81], v[64:65], s[4:5]
	v_mul_f64 v[146:147], v[34:35], s[0:1]
	v_add_f64 v[46:47], v[46:47], v[82:83]
	v_mul_f64 v[82:83], v[64:65], s[28:29]
	v_mul_f64 v[148:149], v[34:35], s[20:21]
	;; [unrolled: 3-line block ×4, first 2 shown]
	v_add_f64 v[54:55], v[40:41], v[54:55]
	v_add_f64 v[64:65], v[104:105], v[68:69]
	;; [unrolled: 1-line block ×7, first 2 shown]
	v_fma_f64 v[40:41], v[106:107], s[18:19], v[36:37]
	v_fma_f64 v[42:43], v[32:33], s[34:35], v[140:141]
	v_add_f64 v[84:85], v[144:145], v[100:101]
	v_fma_f64 v[36:37], v[106:107], s[18:19], -v[36:37]
	v_fma_f64 v[52:53], v[106:107], s[0:1], v[80:81]
	v_fma_f64 v[100:101], v[32:33], s[16:17], v[146:147]
	v_fma_f64 v[80:81], v[106:107], s[0:1], -v[80:81]
	v_fma_f64 v[104:105], v[106:107], s[20:21], v[82:83]
	v_fma_f64 v[136:137], v[32:33], s[36:37], v[148:149]
	;; [unrolled: 3-line block ×5, first 2 shown]
	v_fma_f64 v[148:149], v[32:33], s[28:29], v[148:149]
	v_fma_f64 v[146:147], v[32:33], s[4:5], v[146:147]
	;; [unrolled: 1-line block ×3, first 2 shown]
	s_barrier
	v_add_f64 v[32:33], v[40:41], v[60:61]
	v_add_f64 v[34:35], v[42:43], v[62:63]
	buffer_gl0_inv
	v_add_f64 v[36:37], v[36:37], v[44:45]
	v_add_f64 v[40:41], v[52:53], v[66:67]
	;; [unrolled: 1-line block ×18, first 2 shown]
	ds_write_b128 v191, v[28:31]
	ds_write_b128 v191, v[32:35] offset:16
	ds_write_b128 v191, v[40:43] offset:32
	;; [unrolled: 1-line block ×10, first 2 shown]
	s_and_saveexec_b32 s33, vcc_lo
	s_cbranch_execz .LBB0_13
; %bb.12:
	s_clause 0xf
	buffer_load_dword v146, off, s[40:43], 0
	buffer_load_dword v147, off, s[40:43], 0 offset:4
	buffer_load_dword v148, off, s[40:43], 0 offset:8
	;; [unrolled: 1-line block ×15, first 2 shown]
	v_add_f64 v[28:29], v[2:3], v[26:27]
	v_add_f64 v[30:31], v[0:1], v[24:25]
	v_add_f64 v[42:43], v[8:9], -v[4:5]
	v_add_f64 v[50:51], v[10:11], v[6:7]
	v_add_f64 v[52:53], v[10:11], -v[6:7]
	v_add_f64 v[64:65], v[8:9], v[4:5]
	v_add_f64 v[28:29], v[28:29], v[14:15]
	v_add_f64 v[30:31], v[30:31], v[12:13]
	v_add_f64 v[28:29], v[28:29], v[18:19]
	v_add_f64 v[30:31], v[30:31], v[16:17]
	s_waitcnt vmcnt(14)
	v_add_f64 v[32:33], v[24:25], -v[146:147]
	s_waitcnt vmcnt(12)
	v_add_f64 v[34:35], v[26:27], -v[148:149]
	;; [unrolled: 2-line block ×3, first 2 shown]
	v_add_f64 v[26:27], v[26:27], v[148:149]
	s_waitcnt vmcnt(8)
	v_add_f64 v[38:39], v[14:15], -v[152:153]
	v_add_f64 v[24:25], v[24:25], v[146:147]
	s_waitcnt vmcnt(6)
	v_add_f64 v[46:47], v[20:21], -v[154:155]
	s_waitcnt vmcnt(2)
	v_add_f64 v[48:49], v[16:17], -v[140:141]
	v_add_f64 v[54:55], v[22:23], -v[156:157]
	s_waitcnt vmcnt(0)
	v_add_f64 v[56:57], v[18:19], -v[142:143]
	v_add_f64 v[58:59], v[22:23], v[156:157]
	v_add_f64 v[14:15], v[14:15], v[152:153]
	v_add_f64 v[12:13], v[12:13], v[150:151]
	v_add_f64 v[66:67], v[20:21], v[154:155]
	v_add_f64 v[22:23], v[28:29], v[22:23]
	v_add_f64 v[20:21], v[30:31], v[20:21]
	v_add_f64 v[18:19], v[18:19], v[142:143]
	v_add_f64 v[16:17], v[16:17], v[140:141]
	v_mul_f64 v[40:41], v[32:33], s[24:25]
	v_mul_f64 v[44:45], v[34:35], s[24:25]
	;; [unrolled: 1-line block ×14, first 2 shown]
	v_add_f64 v[10:11], v[22:23], v[10:11]
	v_add_f64 v[8:9], v[20:21], v[8:9]
	v_mul_f64 v[98:99], v[48:49], s[16:17]
	v_mul_f64 v[20:21], v[56:57], s[16:17]
	;; [unrolled: 1-line block ×3, first 2 shown]
	v_fma_f64 v[68:69], v[26:27], s[18:19], v[40:41]
	v_fma_f64 v[72:73], v[24:25], s[18:19], -v[44:45]
	v_fma_f64 v[40:41], v[26:27], s[18:19], -v[40:41]
	v_fma_f64 v[44:45], v[24:25], s[18:19], v[44:45]
	v_fma_f64 v[90:91], v[26:27], s[20:21], v[60:61]
	v_fma_f64 v[94:95], v[24:25], s[20:21], -v[62:63]
	v_fma_f64 v[60:61], v[26:27], s[20:21], -v[60:61]
	v_fma_f64 v[62:63], v[24:25], s[20:21], v[62:63]
	v_fma_f64 v[22:23], v[26:27], s[22:23], v[28:29]
	;; [unrolled: 1-line block ×3, first 2 shown]
	v_fma_f64 v[102:103], v[12:13], s[0:1], -v[70:71]
	v_fma_f64 v[30:31], v[14:15], s[0:1], -v[30:31]
	v_fma_f64 v[70:71], v[12:13], s[0:1], v[70:71]
	v_fma_f64 v[106:107], v[24:25], s[22:23], -v[74:75]
	v_fma_f64 v[136:137], v[14:15], s[22:23], v[80:81]
	v_fma_f64 v[138:139], v[12:13], s[22:23], -v[82:83]
	v_fma_f64 v[80:81], v[14:15], s[22:23], -v[80:81]
	v_fma_f64 v[82:83], v[12:13], s[22:23], v[82:83]
	v_add_f64 v[6:7], v[10:11], v[6:7]
	v_add_f64 v[4:5], v[8:9], v[4:5]
	v_fma_f64 v[8:9], v[14:15], s[18:19], v[86:87]
	v_fma_f64 v[28:29], v[26:27], s[22:23], -v[28:29]
	v_add_f64 v[68:69], v[2:3], v[68:69]
	v_add_f64 v[72:73], v[0:1], v[72:73]
	;; [unrolled: 1-line block ×9, first 2 shown]
	v_mul_f64 v[22:23], v[54:55], s[12:13]
	v_fma_f64 v[86:87], v[14:15], s[18:19], -v[86:87]
	v_fma_f64 v[74:75], v[24:25], s[22:23], v[74:75]
	v_add_f64 v[106:107], v[0:1], v[106:107]
	v_add_f64 v[6:7], v[6:7], v[156:157]
	;; [unrolled: 1-line block ×6, first 2 shown]
	v_fma_f64 v[102:103], v[18:19], s[20:21], v[84:85]
	v_add_f64 v[30:31], v[30:31], v[40:41]
	v_fma_f64 v[40:41], v[16:17], s[20:21], -v[96:97]
	v_mul_f64 v[100:101], v[46:47], s[24:25]
	v_fma_f64 v[84:85], v[18:19], s[20:21], -v[84:85]
	v_add_f64 v[44:45], v[70:71], v[44:45]
	v_mul_f64 v[70:71], v[48:49], s[12:13]
	v_fma_f64 v[96:97], v[16:17], s[20:21], v[96:97]
	v_add_f64 v[90:91], v[136:137], v[90:91]
	v_mul_f64 v[136:137], v[56:57], s[12:13]
	v_add_f64 v[94:95], v[138:139], v[94:95]
	v_fma_f64 v[138:139], v[12:13], s[18:19], -v[92:93]
	v_add_f64 v[60:61], v[80:81], v[60:61]
	v_fma_f64 v[80:81], v[18:19], s[0:1], v[98:99]
	v_add_f64 v[62:63], v[82:83], v[62:63]
	v_fma_f64 v[82:83], v[16:17], s[0:1], -v[20:21]
	v_fma_f64 v[98:99], v[18:19], s[0:1], -v[98:99]
	v_add_f64 v[8:9], v[8:9], v[10:11]
	v_mul_f64 v[10:11], v[54:55], s[24:25]
	v_fma_f64 v[20:21], v[16:17], s[0:1], v[20:21]
	v_add_f64 v[28:29], v[86:87], v[28:29]
	v_mul_f64 v[86:87], v[36:37], s[28:29]
	v_add_f64 v[68:69], v[102:103], v[68:69]
	v_mul_f64 v[102:103], v[46:47], s[16:17]
	v_add_f64 v[40:41], v[40:41], v[72:73]
	v_fma_f64 v[72:73], v[58:59], s[6:7], v[104:105]
	v_add_f64 v[30:31], v[84:85], v[30:31]
	v_mul_f64 v[84:85], v[54:55], s[16:17]
	v_fma_f64 v[104:105], v[58:59], s[6:7], -v[104:105]
	v_add_f64 v[44:45], v[96:97], v[44:45]
	v_fma_f64 v[96:97], v[66:67], s[6:7], -v[22:23]
	v_fma_f64 v[22:23], v[66:67], s[6:7], v[22:23]
	v_mul_f64 v[36:37], v[36:37], s[14:15]
	v_add_f64 v[106:107], v[138:139], v[106:107]
	v_fma_f64 v[138:139], v[18:19], s[6:7], v[70:71]
	v_add_f64 v[80:81], v[80:81], v[90:91]
	v_fma_f64 v[90:91], v[58:59], s[18:19], v[100:101]
	v_add_f64 v[82:83], v[82:83], v[94:95]
	v_fma_f64 v[94:95], v[16:17], s[6:7], -v[136:137]
	v_add_f64 v[60:61], v[98:99], v[60:61]
	v_fma_f64 v[98:99], v[66:67], s[18:19], -v[10:11]
	v_add_f64 v[20:21], v[20:21], v[62:63]
	v_mul_f64 v[62:63], v[32:33], s[14:15]
	v_mul_f64 v[32:33], v[32:33], s[16:17]
	v_fma_f64 v[100:101], v[58:59], s[18:19], -v[100:101]
	v_fma_f64 v[10:11], v[66:67], s[18:19], v[10:11]
	v_fma_f64 v[70:71], v[18:19], s[6:7], -v[70:71]
	v_add_f64 v[68:69], v[72:73], v[68:69]
	v_mul_f64 v[72:73], v[34:35], s[16:17]
	v_mul_f64 v[34:35], v[34:35], s[14:15]
	v_add_f64 v[30:31], v[104:105], v[30:31]
	v_mul_f64 v[104:105], v[38:39], s[14:15]
	v_add_f64 v[40:41], v[96:97], v[40:41]
	v_add_f64 v[22:23], v[22:23], v[44:45]
	v_fma_f64 v[44:45], v[12:13], s[18:19], v[92:93]
	v_fma_f64 v[92:93], v[58:59], s[0:1], v[102:103]
	v_add_f64 v[8:9], v[138:139], v[8:9]
	v_mul_f64 v[38:39], v[38:39], s[28:29]
	v_add_f64 v[80:81], v[90:91], v[80:81]
	v_fma_f64 v[90:91], v[66:67], s[0:1], -v[84:85]
	v_add_f64 v[94:95], v[94:95], v[106:107]
	v_add_f64 v[74:75], v[0:1], v[74:75]
	;; [unrolled: 1-line block ×3, first 2 shown]
	v_fma_f64 v[136:137], v[16:17], s[6:7], v[136:137]
	v_fma_f64 v[96:97], v[26:27], s[6:7], -v[62:63]
	v_fma_f64 v[98:99], v[26:27], s[0:1], -v[32:33]
	v_fma_f64 v[62:63], v[26:27], s[6:7], v[62:63]
	v_fma_f64 v[26:27], v[26:27], s[0:1], v[32:33]
	v_add_f64 v[60:61], v[100:101], v[60:61]
	v_add_f64 v[100:101], v[10:11], v[20:21]
	v_fma_f64 v[106:107], v[24:25], s[0:1], v[72:73]
	v_fma_f64 v[138:139], v[24:25], s[6:7], v[34:35]
	v_fma_f64 v[34:35], v[24:25], s[6:7], -v[34:35]
	v_fma_f64 v[24:25], v[24:25], s[0:1], -v[72:73]
	;; [unrolled: 1-line block ×3, first 2 shown]
	v_fma_f64 v[86:87], v[14:15], s[20:21], v[86:87]
	v_mul_f64 v[10:11], v[52:53], s[12:13]
	v_mul_f64 v[72:73], v[52:53], s[30:31]
	v_add_f64 v[92:93], v[92:93], v[8:9]
	v_add_f64 v[8:9], v[70:71], v[28:29]
	v_fma_f64 v[70:71], v[14:15], s[6:7], -v[36:37]
	v_fma_f64 v[14:15], v[14:15], s[6:7], v[36:37]
	v_add_f64 v[90:91], v[90:91], v[94:95]
	v_add_f64 v[44:45], v[44:45], v[74:75]
	;; [unrolled: 1-line block ×6, first 2 shown]
	v_fma_f64 v[96:97], v[12:13], s[6:7], v[104:105]
	v_add_f64 v[62:63], v[2:3], v[62:63]
	v_add_f64 v[2:3], v[2:3], v[26:27]
	v_fma_f64 v[26:27], v[12:13], s[20:21], v[38:39]
	v_add_f64 v[98:99], v[0:1], v[106:107]
	v_add_f64 v[106:107], v[0:1], v[138:139]
	;; [unrolled: 1-line block ×4, first 2 shown]
	v_mul_f64 v[24:25], v[48:49], s[34:35]
	v_mul_f64 v[48:49], v[48:49], s[30:31]
	v_fma_f64 v[38:39], v[12:13], s[20:21], -v[38:39]
	v_mul_f64 v[138:139], v[56:57], s[30:31]
	v_mul_f64 v[56:57], v[56:57], s[34:35]
	v_fma_f64 v[12:13], v[12:13], s[6:7], -v[104:105]
	v_fma_f64 v[142:143], v[64:65], s[6:7], v[10:11]
	v_fma_f64 v[36:37], v[64:65], s[22:23], -v[72:73]
	v_fma_f64 v[72:73], v[64:65], s[22:23], v[72:73]
	v_add_f64 v[44:45], v[136:137], v[44:45]
	v_mul_f64 v[32:33], v[42:43], s[30:31]
	v_mul_f64 v[74:75], v[42:43], s[12:13]
	v_add_f64 v[20:21], v[20:21], v[28:29]
	v_add_f64 v[70:71], v[70:71], v[94:95]
	v_mul_f64 v[28:29], v[42:43], s[28:29]
	v_add_f64 v[62:63], v[86:87], v[62:63]
	v_add_f64 v[2:3], v[14:15], v[2:3]
	v_mul_f64 v[14:15], v[54:55], s[28:29]
	v_add_f64 v[96:97], v[96:97], v[98:99]
	v_mul_f64 v[98:99], v[46:47], s[26:27]
	;; [unrolled: 2-line block ×3, first 2 shown]
	v_fma_f64 v[106:107], v[18:19], s[18:19], -v[24:25]
	v_fma_f64 v[86:87], v[18:19], s[22:23], -v[48:49]
	v_add_f64 v[34:35], v[38:39], v[34:35]
	v_fma_f64 v[38:39], v[16:17], s[22:23], v[138:139]
	v_fma_f64 v[24:25], v[18:19], s[18:19], v[24:25]
	;; [unrolled: 1-line block ×4, first 2 shown]
	v_mul_f64 v[46:47], v[46:47], s[28:29]
	v_fma_f64 v[56:57], v[16:17], s[18:19], -v[56:57]
	v_fma_f64 v[16:17], v[16:17], s[22:23], -v[138:139]
	;; [unrolled: 1-line block ×3, first 2 shown]
	v_add_f64 v[0:1], v[12:13], v[0:1]
	v_fma_f64 v[10:11], v[58:59], s[0:1], -v[102:103]
	v_fma_f64 v[12:13], v[66:67], s[0:1], v[84:85]
	v_mul_f64 v[84:85], v[42:43], s[4:5]
	v_mul_f64 v[102:103], v[52:53], s[4:5]
	v_fma_f64 v[144:145], v[50:51], s[20:21], v[28:29]
	v_mul_f64 v[94:95], v[52:53], s[28:29]
	v_mul_f64 v[42:43], v[42:43], s[24:25]
	;; [unrolled: 1-line block ×3, first 2 shown]
	v_fma_f64 v[140:141], v[50:51], s[22:23], v[32:33]
	v_fma_f64 v[32:33], v[50:51], s[22:23], -v[32:33]
	v_add_f64 v[20:21], v[106:107], v[20:21]
	v_add_f64 v[70:71], v[86:87], v[70:71]
	v_fma_f64 v[86:87], v[58:59], s[22:23], -v[98:99]
	v_add_f64 v[38:39], v[38:39], v[96:97]
	v_add_f64 v[24:25], v[24:25], v[62:63]
	v_fma_f64 v[62:63], v[66:67], s[22:23], v[54:55]
	v_add_f64 v[26:27], v[48:49], v[26:27]
	v_fma_f64 v[48:49], v[66:67], s[20:21], v[14:15]
	v_fma_f64 v[96:97], v[58:59], s[20:21], -v[46:47]
	v_fma_f64 v[98:99], v[58:59], s[22:23], v[98:99]
	v_add_f64 v[34:35], v[56:57], v[34:35]
	v_add_f64 v[0:1], v[16:17], v[0:1]
	v_fma_f64 v[16:17], v[50:51], s[20:21], -v[28:29]
	v_add_f64 v[12:13], v[12:13], v[44:45]
	v_fma_f64 v[28:29], v[50:51], s[0:1], -v[84:85]
	v_fma_f64 v[44:45], v[64:65], s[0:1], v[102:103]
	v_fma_f64 v[54:55], v[66:67], s[22:23], -v[54:55]
	v_fma_f64 v[46:47], v[58:59], s[20:21], v[46:47]
	v_add_f64 v[2:3], v[18:19], v[2:3]
	v_fma_f64 v[14:15], v[66:67], s[20:21], -v[14:15]
	v_fma_f64 v[56:57], v[64:65], s[20:21], -v[94:95]
	v_fma_f64 v[58:59], v[64:65], s[20:21], v[94:95]
	v_add_f64 v[94:95], v[6:7], v[152:153]
	v_fma_f64 v[66:67], v[50:51], s[18:19], -v[42:43]
	v_add_f64 v[20:21], v[86:87], v[20:21]
	v_fma_f64 v[86:87], v[64:65], s[18:19], v[52:53]
	v_add_f64 v[18:19], v[10:11], v[8:9]
	v_fma_f64 v[104:105], v[50:51], s[6:7], v[74:75]
	v_fma_f64 v[74:75], v[50:51], s[6:7], -v[74:75]
	v_add_f64 v[38:39], v[48:49], v[38:39]
	v_add_f64 v[48:49], v[62:63], v[26:27]
	v_add_f64 v[70:71], v[96:97], v[70:71]
	v_add_f64 v[96:97], v[4:5], v[150:151]
	v_add_f64 v[4:5], v[72:73], v[22:23]
	v_fma_f64 v[62:63], v[50:51], s[0:1], v[84:85]
	v_add_f64 v[84:85], v[98:99], v[24:25]
	v_fma_f64 v[98:99], v[64:65], s[0:1], -v[102:103]
	v_fma_f64 v[42:43], v[50:51], s[18:19], v[42:43]
	v_add_f64 v[54:55], v[54:55], v[34:35]
	v_fma_f64 v[50:51], v[64:65], s[18:19], -v[52:53]
	v_add_f64 v[46:47], v[46:47], v[2:3]
	v_add_f64 v[52:53], v[14:15], v[0:1]
	;; [unrolled: 1-line block ×13, first 2 shown]
	buffer_load_dword v44, off, s[40:43], 0 offset:756 ; 4-byte Folded Reload
	v_add_f64 v[28:29], v[96:97], v[146:147]
	v_add_f64 v[26:27], v[66:67], v[70:71]
	;; [unrolled: 1-line block ×10, first 2 shown]
	s_waitcnt vmcnt(0)
	v_lshlrev_b32_e32 v44, 4, v44
	ds_write_b128 v44, v[28:31]
	ds_write_b128 v44, v[24:27] offset:16
	ds_write_b128 v44, v[20:23] offset:32
	ds_write_b128 v44, v[16:19] offset:48
	ds_write_b128 v44, v[12:15] offset:64
	ds_write_b128 v44, v[4:7] offset:80
	ds_write_b128 v44, v[0:3] offset:96
	ds_write_b128 v44, v[8:11] offset:112
	ds_write_b128 v44, v[32:35] offset:128
	ds_write_b128 v44, v[36:39] offset:144
	ds_write_b128 v44, v[40:43] offset:160
.LBB0_13:
	s_or_b32 exec_lo, exec_lo, s33
	s_waitcnt lgkmcnt(0)
	s_barrier
	buffer_gl0_inv
	ds_read_b128 v[0:3], v190 offset:9504
	ds_read_b128 v[4:7], v190 offset:11088
	s_clause 0x3
	buffer_load_dword v14, off, s[40:43], 0 offset:476
	buffer_load_dword v15, off, s[40:43], 0 offset:480
	;; [unrolled: 1-line block ×4, first 2 shown]
	s_mov_b32 s0, 0xe8584caa
	s_mov_b32 s1, 0xbfebb67a
	;; [unrolled: 1-line block ×4, first 2 shown]
	s_waitcnt vmcnt(0) lgkmcnt(1)
	v_mul_f64 v[8:9], v[16:17], v[2:3]
	v_fma_f64 v[12:13], v[14:15], v[0:1], v[8:9]
	v_mul_f64 v[0:1], v[16:17], v[0:1]
	v_fma_f64 v[14:15], v[14:15], v[2:3], -v[0:1]
	ds_read_b128 v[0:3], v190 offset:19008
	ds_read_b128 v[8:11], v190 offset:20592
	s_clause 0x3
	buffer_load_dword v18, off, s[40:43], 0 offset:444
	buffer_load_dword v19, off, s[40:43], 0 offset:448
	;; [unrolled: 1-line block ×4, first 2 shown]
	s_waitcnt vmcnt(0) lgkmcnt(1)
	v_mul_f64 v[16:17], v[20:21], v[2:3]
	v_fma_f64 v[16:17], v[18:19], v[0:1], v[16:17]
	v_mul_f64 v[0:1], v[20:21], v[0:1]
	s_clause 0x3
	buffer_load_dword v20, off, s[40:43], 0 offset:460
	buffer_load_dword v21, off, s[40:43], 0 offset:464
	buffer_load_dword v22, off, s[40:43], 0 offset:468
	buffer_load_dword v23, off, s[40:43], 0 offset:472
	v_fma_f64 v[18:19], v[18:19], v[2:3], -v[0:1]
	s_waitcnt vmcnt(0)
	v_mul_f64 v[0:1], v[22:23], v[6:7]
	v_fma_f64 v[32:33], v[20:21], v[4:5], v[0:1]
	v_mul_f64 v[0:1], v[22:23], v[4:5]
	s_clause 0x3
	buffer_load_dword v2, off, s[40:43], 0 offset:492
	buffer_load_dword v3, off, s[40:43], 0 offset:496
	;; [unrolled: 1-line block ×4, first 2 shown]
	v_fma_f64 v[34:35], v[20:21], v[6:7], -v[0:1]
	s_waitcnt vmcnt(0) lgkmcnt(0)
	v_mul_f64 v[0:1], v[4:5], v[10:11]
	v_fma_f64 v[36:37], v[2:3], v[8:9], v[0:1]
	v_mul_f64 v[0:1], v[4:5], v[8:9]
	v_fma_f64 v[38:39], v[2:3], v[10:11], -v[0:1]
	ds_read_b128 v[0:3], v190 offset:12672
	ds_read_b128 v[4:7], v190 offset:14256
	s_clause 0x3
	buffer_load_dword v20, off, s[40:43], 0 offset:420
	buffer_load_dword v21, off, s[40:43], 0 offset:424
	;; [unrolled: 1-line block ×4, first 2 shown]
	s_waitcnt vmcnt(0) lgkmcnt(1)
	v_mul_f64 v[8:9], v[22:23], v[2:3]
	v_fma_f64 v[40:41], v[20:21], v[0:1], v[8:9]
	v_mul_f64 v[0:1], v[22:23], v[0:1]
	v_fma_f64 v[42:43], v[20:21], v[2:3], -v[0:1]
	ds_read_b128 v[0:3], v190 offset:22176
	ds_read_b128 v[8:11], v190 offset:23760
	s_clause 0x3
	buffer_load_dword v22, off, s[40:43], 0 offset:372
	buffer_load_dword v23, off, s[40:43], 0 offset:376
	;; [unrolled: 1-line block ×4, first 2 shown]
	s_waitcnt vmcnt(0) lgkmcnt(1)
	v_mul_f64 v[20:21], v[24:25], v[2:3]
	v_fma_f64 v[44:45], v[22:23], v[0:1], v[20:21]
	v_mul_f64 v[0:1], v[24:25], v[0:1]
	v_fma_f64 v[46:47], v[22:23], v[2:3], -v[0:1]
	s_clause 0x3
	buffer_load_dword v20, off, s[40:43], 0 offset:356
	buffer_load_dword v21, off, s[40:43], 0 offset:360
	;; [unrolled: 1-line block ×4, first 2 shown]
	s_waitcnt vmcnt(0)
	v_mul_f64 v[0:1], v[22:23], v[6:7]
	v_fma_f64 v[48:49], v[20:21], v[4:5], v[0:1]
	v_mul_f64 v[0:1], v[22:23], v[4:5]
	s_clause 0x3
	buffer_load_dword v2, off, s[40:43], 0 offset:404
	buffer_load_dword v3, off, s[40:43], 0 offset:408
	;; [unrolled: 1-line block ×4, first 2 shown]
	v_fma_f64 v[50:51], v[20:21], v[6:7], -v[0:1]
	s_waitcnt vmcnt(0) lgkmcnt(0)
	v_mul_f64 v[0:1], v[4:5], v[10:11]
	v_fma_f64 v[52:53], v[2:3], v[8:9], v[0:1]
	v_mul_f64 v[0:1], v[4:5], v[8:9]
	v_fma_f64 v[54:55], v[2:3], v[10:11], -v[0:1]
	ds_read_b128 v[0:3], v190 offset:15840
	ds_read_b128 v[4:7], v190 offset:17424
	s_clause 0x3
	buffer_load_dword v20, off, s[40:43], 0 offset:340
	buffer_load_dword v21, off, s[40:43], 0 offset:344
	;; [unrolled: 1-line block ×4, first 2 shown]
	s_waitcnt vmcnt(0) lgkmcnt(1)
	v_mul_f64 v[8:9], v[22:23], v[2:3]
	v_fma_f64 v[56:57], v[20:21], v[0:1], v[8:9]
	v_mul_f64 v[0:1], v[22:23], v[0:1]
	v_fma_f64 v[58:59], v[20:21], v[2:3], -v[0:1]
	ds_read_b128 v[0:3], v190 offset:25344
	ds_read_b128 v[8:11], v190 offset:26928
	s_clause 0x3
	buffer_load_dword v22, off, s[40:43], 0 offset:324
	buffer_load_dword v23, off, s[40:43], 0 offset:328
	;; [unrolled: 1-line block ×4, first 2 shown]
	s_waitcnt vmcnt(0) lgkmcnt(1)
	v_mul_f64 v[20:21], v[24:25], v[2:3]
	v_fma_f64 v[60:61], v[22:23], v[0:1], v[20:21]
	v_mul_f64 v[0:1], v[24:25], v[0:1]
	v_fma_f64 v[62:63], v[22:23], v[2:3], -v[0:1]
	s_clause 0x3
	buffer_load_dword v20, off, s[40:43], 0 offset:308
	buffer_load_dword v21, off, s[40:43], 0 offset:312
	;; [unrolled: 1-line block ×4, first 2 shown]
	s_waitcnt vmcnt(0)
	v_mul_f64 v[0:1], v[22:23], v[6:7]
	v_fma_f64 v[64:65], v[20:21], v[4:5], v[0:1]
	v_mul_f64 v[0:1], v[22:23], v[4:5]
	s_clause 0x3
	buffer_load_dword v2, off, s[40:43], 0 offset:388
	buffer_load_dword v3, off, s[40:43], 0 offset:392
	;; [unrolled: 1-line block ×4, first 2 shown]
	v_fma_f64 v[66:67], v[20:21], v[6:7], -v[0:1]
	s_waitcnt vmcnt(0) lgkmcnt(0)
	v_mul_f64 v[0:1], v[4:5], v[10:11]
	v_fma_f64 v[68:69], v[2:3], v[8:9], v[0:1]
	v_mul_f64 v[0:1], v[4:5], v[8:9]
	v_add_f64 v[8:9], v[12:13], v[16:17]
	v_fma_f64 v[70:71], v[2:3], v[10:11], -v[0:1]
	ds_read_b128 v[0:3], v190
	ds_read_b128 v[4:7], v190 offset:1584
	s_waitcnt lgkmcnt(1)
	v_fma_f64 v[10:11], v[8:9], -0.5, v[0:1]
	v_add_f64 v[8:9], v[14:15], v[18:19]
	v_add_f64 v[0:1], v[0:1], v[12:13]
	v_fma_f64 v[20:21], v[8:9], -0.5, v[2:3]
	v_add_f64 v[2:3], v[2:3], v[14:15]
	v_add_f64 v[14:15], v[14:15], -v[18:19]
	v_add_f64 v[0:1], v[0:1], v[16:17]
	v_add_f64 v[16:17], v[12:13], -v[16:17]
	v_add_f64 v[2:3], v[2:3], v[18:19]
	v_fma_f64 v[8:9], v[14:15], s[0:1], v[10:11]
	v_fma_f64 v[12:13], v[14:15], s[4:5], v[10:11]
	v_fma_f64 v[10:11], v[16:17], s[4:5], v[20:21]
	v_fma_f64 v[14:15], v[16:17], s[0:1], v[20:21]
	ds_read_b128 v[16:19], v190 offset:3168
	ds_read_b128 v[20:23], v190 offset:4752
	;; [unrolled: 1-line block ×4, first 2 shown]
	s_waitcnt lgkmcnt(0)
	s_barrier
	buffer_gl0_inv
	buffer_load_dword v72, off, s[40:43], 0 offset:440 ; 4-byte Folded Reload
	s_waitcnt vmcnt(0)
	ds_write_b128 v72, v[0:3]
	ds_write_b128 v72, v[8:11] offset:176
	ds_write_b128 v72, v[12:15] offset:352
	v_add_f64 v[0:1], v[32:33], v[36:37]
	v_add_f64 v[12:13], v[32:33], -v[36:37]
	v_fma_f64 v[8:9], v[0:1], -0.5, v[4:5]
	v_add_f64 v[0:1], v[34:35], v[38:39]
	v_add_f64 v[4:5], v[4:5], v[32:33]
	v_fma_f64 v[10:11], v[0:1], -0.5, v[6:7]
	v_add_f64 v[0:1], v[6:7], v[34:35]
	v_add_f64 v[6:7], v[34:35], -v[38:39]
	v_add_f64 v[2:3], v[0:1], v[38:39]
	v_add_f64 v[0:1], v[4:5], v[36:37]
	v_fma_f64 v[4:5], v[6:7], s[0:1], v[8:9]
	v_fma_f64 v[8:9], v[6:7], s[4:5], v[8:9]
	v_fma_f64 v[6:7], v[12:13], s[4:5], v[10:11]
	v_fma_f64 v[10:11], v[12:13], s[0:1], v[10:11]
	buffer_load_dword v12, off, s[40:43], 0 offset:436 ; 4-byte Folded Reload
	s_waitcnt vmcnt(0)
	ds_write_b128 v12, v[0:3]
	ds_write_b128 v12, v[4:7] offset:176
	ds_write_b128 v12, v[8:11] offset:352
	v_add_f64 v[0:1], v[40:41], v[44:45]
	v_add_f64 v[4:5], v[16:17], v[40:41]
	v_add_f64 v[8:9], v[42:43], -v[46:47]
	v_add_f64 v[12:13], v[40:41], -v[44:45]
	v_fma_f64 v[6:7], v[0:1], -0.5, v[16:17]
	v_add_f64 v[0:1], v[42:43], v[46:47]
	v_fma_f64 v[10:11], v[0:1], -0.5, v[18:19]
	v_add_f64 v[0:1], v[18:19], v[42:43]
	v_add_f64 v[2:3], v[0:1], v[46:47]
	v_add_f64 v[0:1], v[4:5], v[44:45]
	v_fma_f64 v[4:5], v[8:9], s[0:1], v[6:7]
	v_fma_f64 v[8:9], v[8:9], s[4:5], v[6:7]
	v_fma_f64 v[6:7], v[12:13], s[4:5], v[10:11]
	v_fma_f64 v[10:11], v[12:13], s[0:1], v[10:11]
	buffer_load_dword v12, off, s[40:43], 0 offset:752 ; 4-byte Folded Reload
	s_waitcnt vmcnt(0)
	ds_write_b128 v12, v[0:3]
	ds_write_b128 v12, v[4:7] offset:176
	ds_write_b128 v12, v[8:11] offset:352
	v_add_f64 v[0:1], v[48:49], v[52:53]
	v_add_f64 v[4:5], v[20:21], v[48:49]
	v_add_f64 v[8:9], v[50:51], -v[54:55]
	v_add_f64 v[12:13], v[48:49], -v[52:53]
	v_fma_f64 v[6:7], v[0:1], -0.5, v[20:21]
	v_add_f64 v[0:1], v[50:51], v[54:55]
	v_fma_f64 v[10:11], v[0:1], -0.5, v[22:23]
	v_add_f64 v[0:1], v[22:23], v[50:51]
	;; [unrolled: 19-line block ×4, first 2 shown]
	v_add_f64 v[2:3], v[0:1], v[70:71]
	v_add_f64 v[0:1], v[4:5], v[68:69]
	v_fma_f64 v[4:5], v[8:9], s[0:1], v[6:7]
	v_fma_f64 v[8:9], v[8:9], s[4:5], v[6:7]
	v_fma_f64 v[6:7], v[12:13], s[4:5], v[10:11]
	v_fma_f64 v[10:11], v[12:13], s[0:1], v[10:11]
	buffer_load_dword v12, off, s[40:43], 0 offset:740 ; 4-byte Folded Reload
	s_waitcnt vmcnt(0)
	ds_write_b128 v12, v[0:3]
	ds_write_b128 v12, v[4:7] offset:176
	ds_write_b128 v12, v[8:11] offset:352
	s_waitcnt lgkmcnt(0)
	s_barrier
	buffer_gl0_inv
	ds_read_b128 v[0:3], v190 offset:9504
	ds_read_b128 v[4:7], v190 offset:11088
	s_clause 0x3
	buffer_load_dword v14, off, s[40:43], 0 offset:708
	buffer_load_dword v15, off, s[40:43], 0 offset:712
	;; [unrolled: 1-line block ×4, first 2 shown]
	s_waitcnt vmcnt(0) lgkmcnt(1)
	v_mul_f64 v[8:9], v[16:17], v[2:3]
	v_fma_f64 v[12:13], v[14:15], v[0:1], v[8:9]
	v_mul_f64 v[0:1], v[16:17], v[0:1]
	v_fma_f64 v[14:15], v[14:15], v[2:3], -v[0:1]
	ds_read_b128 v[0:3], v190 offset:19008
	ds_read_b128 v[8:11], v190 offset:20592
	s_clause 0x3
	buffer_load_dword v18, off, s[40:43], 0 offset:660
	buffer_load_dword v19, off, s[40:43], 0 offset:664
	;; [unrolled: 1-line block ×4, first 2 shown]
	s_waitcnt vmcnt(0) lgkmcnt(1)
	v_mul_f64 v[16:17], v[20:21], v[2:3]
	v_fma_f64 v[16:17], v[18:19], v[0:1], v[16:17]
	v_mul_f64 v[0:1], v[20:21], v[0:1]
	v_fma_f64 v[18:19], v[18:19], v[2:3], -v[0:1]
	v_mul_f64 v[0:1], v[186:187], v[6:7]
	v_fma_f64 v[32:33], v[184:185], v[4:5], v[0:1]
	v_mul_f64 v[0:1], v[186:187], v[4:5]
	s_clause 0x3
	buffer_load_dword v2, off, s[40:43], 0 offset:692
	buffer_load_dword v3, off, s[40:43], 0 offset:696
	;; [unrolled: 1-line block ×4, first 2 shown]
	v_fma_f64 v[34:35], v[184:185], v[6:7], -v[0:1]
	s_waitcnt vmcnt(0) lgkmcnt(0)
	v_mul_f64 v[0:1], v[4:5], v[10:11]
	v_fma_f64 v[36:37], v[2:3], v[8:9], v[0:1]
	v_mul_f64 v[0:1], v[4:5], v[8:9]
	v_fma_f64 v[38:39], v[2:3], v[10:11], -v[0:1]
	ds_read_b128 v[0:3], v190 offset:12672
	ds_read_b128 v[4:7], v190 offset:14256
	s_clause 0x3
	buffer_load_dword v20, off, s[40:43], 0 offset:612
	buffer_load_dword v21, off, s[40:43], 0 offset:616
	;; [unrolled: 1-line block ×4, first 2 shown]
	s_waitcnt vmcnt(0) lgkmcnt(1)
	v_mul_f64 v[8:9], v[22:23], v[2:3]
	v_fma_f64 v[40:41], v[20:21], v[0:1], v[8:9]
	v_mul_f64 v[0:1], v[22:23], v[0:1]
	v_fma_f64 v[42:43], v[20:21], v[2:3], -v[0:1]
	ds_read_b128 v[0:3], v190 offset:22176
	ds_read_b128 v[8:11], v190 offset:23760
	s_clause 0x3
	buffer_load_dword v22, off, s[40:43], 0 offset:576
	buffer_load_dword v23, off, s[40:43], 0 offset:580
	;; [unrolled: 1-line block ×4, first 2 shown]
	s_waitcnt vmcnt(0) lgkmcnt(1)
	v_mul_f64 v[20:21], v[24:25], v[2:3]
	v_fma_f64 v[44:45], v[22:23], v[0:1], v[20:21]
	v_mul_f64 v[0:1], v[24:25], v[0:1]
	v_fma_f64 v[46:47], v[22:23], v[2:3], -v[0:1]
	v_mul_f64 v[0:1], v[78:79], v[6:7]
	v_fma_f64 v[48:49], v[76:77], v[4:5], v[0:1]
	v_mul_f64 v[0:1], v[78:79], v[4:5]
	s_clause 0x3
	buffer_load_dword v2, off, s[40:43], 0 offset:676
	buffer_load_dword v3, off, s[40:43], 0 offset:680
	;; [unrolled: 1-line block ×4, first 2 shown]
	v_fma_f64 v[50:51], v[76:77], v[6:7], -v[0:1]
	s_waitcnt vmcnt(0) lgkmcnt(0)
	v_mul_f64 v[0:1], v[4:5], v[10:11]
	v_fma_f64 v[52:53], v[2:3], v[8:9], v[0:1]
	v_mul_f64 v[0:1], v[4:5], v[8:9]
	v_fma_f64 v[54:55], v[2:3], v[10:11], -v[0:1]
	ds_read_b128 v[0:3], v190 offset:15840
	ds_read_b128 v[4:7], v190 offset:17424
	s_clause 0x3
	buffer_load_dword v20, off, s[40:43], 0 offset:592
	buffer_load_dword v21, off, s[40:43], 0 offset:596
	;; [unrolled: 1-line block ×4, first 2 shown]
	s_waitcnt vmcnt(0) lgkmcnt(1)
	v_mul_f64 v[8:9], v[22:23], v[2:3]
	v_fma_f64 v[56:57], v[20:21], v[0:1], v[8:9]
	v_mul_f64 v[0:1], v[22:23], v[0:1]
	v_fma_f64 v[58:59], v[20:21], v[2:3], -v[0:1]
	ds_read_b128 v[0:3], v190 offset:25344
	ds_read_b128 v[8:11], v190 offset:26928
	s_clause 0x3
	buffer_load_dword v22, off, s[40:43], 0 offset:560
	buffer_load_dword v23, off, s[40:43], 0 offset:564
	;; [unrolled: 1-line block ×4, first 2 shown]
	s_waitcnt vmcnt(0) lgkmcnt(1)
	v_mul_f64 v[20:21], v[24:25], v[2:3]
	v_fma_f64 v[60:61], v[22:23], v[0:1], v[20:21]
	v_mul_f64 v[0:1], v[24:25], v[0:1]
	v_fma_f64 v[62:63], v[22:23], v[2:3], -v[0:1]
	s_clause 0x3
	buffer_load_dword v20, off, s[40:43], 0 offset:644
	buffer_load_dword v21, off, s[40:43], 0 offset:648
	;; [unrolled: 1-line block ×4, first 2 shown]
	s_waitcnt vmcnt(0)
	v_mul_f64 v[0:1], v[22:23], v[6:7]
	v_fma_f64 v[64:65], v[20:21], v[4:5], v[0:1]
	v_mul_f64 v[0:1], v[22:23], v[4:5]
	s_clause 0x3
	buffer_load_dword v2, off, s[40:43], 0 offset:628
	buffer_load_dword v3, off, s[40:43], 0 offset:632
	;; [unrolled: 1-line block ×4, first 2 shown]
	v_fma_f64 v[66:67], v[20:21], v[6:7], -v[0:1]
	s_waitcnt vmcnt(0) lgkmcnt(0)
	v_mul_f64 v[0:1], v[4:5], v[10:11]
	v_fma_f64 v[68:69], v[2:3], v[8:9], v[0:1]
	v_mul_f64 v[0:1], v[4:5], v[8:9]
	v_add_f64 v[8:9], v[12:13], v[16:17]
	v_fma_f64 v[70:71], v[2:3], v[10:11], -v[0:1]
	ds_read_b128 v[0:3], v190
	ds_read_b128 v[4:7], v190 offset:1584
	s_waitcnt lgkmcnt(1)
	v_fma_f64 v[10:11], v[8:9], -0.5, v[0:1]
	v_add_f64 v[8:9], v[14:15], v[18:19]
	v_add_f64 v[0:1], v[0:1], v[12:13]
	v_fma_f64 v[20:21], v[8:9], -0.5, v[2:3]
	v_add_f64 v[2:3], v[2:3], v[14:15]
	v_add_f64 v[14:15], v[14:15], -v[18:19]
	v_add_f64 v[0:1], v[0:1], v[16:17]
	v_add_f64 v[16:17], v[12:13], -v[16:17]
	v_add_f64 v[2:3], v[2:3], v[18:19]
	v_fma_f64 v[8:9], v[14:15], s[0:1], v[10:11]
	v_fma_f64 v[12:13], v[14:15], s[4:5], v[10:11]
	v_fma_f64 v[10:11], v[16:17], s[4:5], v[20:21]
	v_fma_f64 v[14:15], v[16:17], s[0:1], v[20:21]
	ds_read_b128 v[16:19], v190 offset:3168
	ds_read_b128 v[20:23], v190 offset:4752
	;; [unrolled: 1-line block ×4, first 2 shown]
	s_waitcnt lgkmcnt(0)
	s_barrier
	buffer_gl0_inv
	buffer_load_dword v72, off, s[40:43], 0 offset:608 ; 4-byte Folded Reload
	s_waitcnt vmcnt(0)
	ds_write_b128 v72, v[0:3]
	ds_write_b128 v72, v[8:11] offset:528
	ds_write_b128 v72, v[12:15] offset:1056
	v_add_f64 v[0:1], v[32:33], v[36:37]
	v_add_f64 v[12:13], v[32:33], -v[36:37]
	v_fma_f64 v[8:9], v[0:1], -0.5, v[4:5]
	v_add_f64 v[0:1], v[34:35], v[38:39]
	v_add_f64 v[4:5], v[4:5], v[32:33]
	v_fma_f64 v[10:11], v[0:1], -0.5, v[6:7]
	v_add_f64 v[0:1], v[6:7], v[34:35]
	v_add_f64 v[6:7], v[34:35], -v[38:39]
	v_add_f64 v[2:3], v[0:1], v[38:39]
	v_add_f64 v[0:1], v[4:5], v[36:37]
	v_fma_f64 v[4:5], v[6:7], s[0:1], v[8:9]
	v_fma_f64 v[8:9], v[6:7], s[4:5], v[8:9]
	v_fma_f64 v[6:7], v[12:13], s[4:5], v[10:11]
	v_fma_f64 v[10:11], v[12:13], s[0:1], v[10:11]
	buffer_load_dword v12, off, s[40:43], 0 offset:556 ; 4-byte Folded Reload
	s_waitcnt vmcnt(0)
	ds_write_b128 v12, v[0:3]
	ds_write_b128 v12, v[4:7] offset:528
	ds_write_b128 v12, v[8:11] offset:1056
	v_add_f64 v[0:1], v[40:41], v[44:45]
	v_add_f64 v[4:5], v[16:17], v[40:41]
	v_add_f64 v[8:9], v[42:43], -v[46:47]
	v_add_f64 v[12:13], v[40:41], -v[44:45]
	v_fma_f64 v[6:7], v[0:1], -0.5, v[16:17]
	v_add_f64 v[0:1], v[42:43], v[46:47]
	v_fma_f64 v[10:11], v[0:1], -0.5, v[18:19]
	v_add_f64 v[0:1], v[18:19], v[42:43]
	v_add_f64 v[2:3], v[0:1], v[46:47]
	v_add_f64 v[0:1], v[4:5], v[44:45]
	v_fma_f64 v[4:5], v[8:9], s[0:1], v[6:7]
	v_fma_f64 v[8:9], v[8:9], s[4:5], v[6:7]
	v_fma_f64 v[6:7], v[12:13], s[4:5], v[10:11]
	v_fma_f64 v[10:11], v[12:13], s[0:1], v[10:11]
	buffer_load_dword v12, off, s[40:43], 0 offset:552 ; 4-byte Folded Reload
	s_waitcnt vmcnt(0)
	ds_write_b128 v12, v[0:3]
	ds_write_b128 v12, v[4:7] offset:528
	ds_write_b128 v12, v[8:11] offset:1056
	v_add_f64 v[0:1], v[48:49], v[52:53]
	v_add_f64 v[4:5], v[20:21], v[48:49]
	v_add_f64 v[8:9], v[50:51], -v[54:55]
	v_add_f64 v[12:13], v[48:49], -v[52:53]
	v_fma_f64 v[6:7], v[0:1], -0.5, v[20:21]
	v_add_f64 v[0:1], v[50:51], v[54:55]
	v_fma_f64 v[10:11], v[0:1], -0.5, v[22:23]
	v_add_f64 v[0:1], v[22:23], v[50:51]
	;; [unrolled: 19-line block ×4, first 2 shown]
	v_add_f64 v[2:3], v[0:1], v[70:71]
	v_add_f64 v[0:1], v[4:5], v[68:69]
	v_fma_f64 v[4:5], v[8:9], s[0:1], v[6:7]
	v_fma_f64 v[8:9], v[8:9], s[4:5], v[6:7]
	;; [unrolled: 1-line block ×4, first 2 shown]
	buffer_load_dword v12, off, s[40:43], 0 offset:508 ; 4-byte Folded Reload
	s_waitcnt vmcnt(0)
	ds_write_b128 v12, v[0:3]
	ds_write_b128 v12, v[4:7] offset:528
	ds_write_b128 v12, v[8:11] offset:1056
	s_waitcnt lgkmcnt(0)
	s_barrier
	buffer_gl0_inv
	ds_read_b128 v[0:3], v190 offset:9504
	ds_read_b128 v[4:7], v190 offset:11088
	s_waitcnt lgkmcnt(1)
	v_mul_f64 v[8:9], v[110:111], v[2:3]
	v_fma_f64 v[12:13], v[108:109], v[0:1], v[8:9]
	v_mul_f64 v[0:1], v[110:111], v[0:1]
	v_fma_f64 v[14:15], v[108:109], v[2:3], -v[0:1]
	s_waitcnt lgkmcnt(0)
	v_mul_f64 v[0:1], v[110:111], v[6:7]
	v_fma_f64 v[16:17], v[108:109], v[4:5], v[0:1]
	v_mul_f64 v[0:1], v[110:111], v[4:5]
	v_fma_f64 v[18:19], v[108:109], v[6:7], -v[0:1]
	ds_read_b128 v[0:3], v190 offset:19008
	ds_read_b128 v[4:7], v190 offset:20592
	s_waitcnt lgkmcnt(1)
	v_mul_f64 v[8:9], v[246:247], v[2:3]
	v_fma_f64 v[20:21], v[244:245], v[0:1], v[8:9]
	v_mul_f64 v[0:1], v[246:247], v[0:1]
	v_fma_f64 v[22:23], v[244:245], v[2:3], -v[0:1]
	s_waitcnt lgkmcnt(0)
	v_mul_f64 v[0:1], v[246:247], v[6:7]
	v_fma_f64 v[24:25], v[244:245], v[4:5], v[0:1]
	v_mul_f64 v[0:1], v[246:247], v[4:5]
	v_fma_f64 v[26:27], v[244:245], v[6:7], -v[0:1]
	ds_read_b128 v[0:3], v190 offset:12672
	ds_read_b128 v[4:7], v190 offset:14256
	s_waitcnt lgkmcnt(1)
	v_mul_f64 v[8:9], v[226:227], v[2:3]
	v_fma_f64 v[32:33], v[224:225], v[0:1], v[8:9]
	v_mul_f64 v[0:1], v[226:227], v[0:1]
	v_fma_f64 v[34:35], v[224:225], v[2:3], -v[0:1]
	ds_read_b128 v[0:3], v190 offset:22176
	ds_read_b128 v[8:11], v190 offset:23760
	s_waitcnt lgkmcnt(1)
	v_mul_f64 v[28:29], v[222:223], v[2:3]
	v_fma_f64 v[36:37], v[220:221], v[0:1], v[28:29]
	v_mul_f64 v[0:1], v[222:223], v[0:1]
	v_add_f64 v[40:41], v[32:33], v[36:37]
	v_fma_f64 v[38:39], v[220:221], v[2:3], -v[0:1]
	v_mul_f64 v[0:1], v[242:243], v[6:7]
	v_add_f64 v[42:43], v[34:35], v[38:39]
	v_fma_f64 v[48:49], v[240:241], v[4:5], v[0:1]
	v_mul_f64 v[0:1], v[242:243], v[4:5]
	v_fma_f64 v[50:51], v[240:241], v[6:7], -v[0:1]
	s_waitcnt lgkmcnt(0)
	v_mul_f64 v[0:1], v[238:239], v[10:11]
	v_fma_f64 v[52:53], v[236:237], v[8:9], v[0:1]
	v_mul_f64 v[0:1], v[238:239], v[8:9]
	v_fma_f64 v[54:55], v[236:237], v[10:11], -v[0:1]
	ds_read_b128 v[0:3], v190 offset:15840
	ds_read_b128 v[4:7], v190 offset:17424
	s_waitcnt lgkmcnt(1)
	v_mul_f64 v[8:9], v[234:235], v[2:3]
	v_fma_f64 v[56:57], v[232:233], v[0:1], v[8:9]
	v_mul_f64 v[0:1], v[234:235], v[0:1]
	v_fma_f64 v[58:59], v[232:233], v[2:3], -v[0:1]
	ds_read_b128 v[0:3], v190 offset:25344
	ds_read_b128 v[8:11], v190 offset:26928
	s_waitcnt lgkmcnt(1)
	v_mul_f64 v[28:29], v[230:231], v[2:3]
	v_fma_f64 v[60:61], v[228:229], v[0:1], v[28:29]
	v_mul_f64 v[0:1], v[230:231], v[0:1]
	v_fma_f64 v[62:63], v[228:229], v[2:3], -v[0:1]
	v_mul_f64 v[0:1], v[254:255], v[6:7]
	v_fma_f64 v[64:65], v[252:253], v[4:5], v[0:1]
	v_mul_f64 v[0:1], v[254:255], v[4:5]
	v_fma_f64 v[66:67], v[252:253], v[6:7], -v[0:1]
	s_waitcnt lgkmcnt(0)
	v_mul_f64 v[0:1], v[250:251], v[10:11]
	v_fma_f64 v[68:69], v[248:249], v[8:9], v[0:1]
	v_mul_f64 v[0:1], v[250:251], v[8:9]
	v_add_f64 v[8:9], v[12:13], v[20:21]
	v_fma_f64 v[70:71], v[248:249], v[10:11], -v[0:1]
	ds_read_b128 v[0:3], v190
	ds_read_b128 v[4:7], v190 offset:1584
	s_waitcnt lgkmcnt(1)
	v_fma_f64 v[10:11], v[8:9], -0.5, v[0:1]
	v_add_f64 v[8:9], v[14:15], v[22:23]
	v_add_f64 v[0:1], v[0:1], v[12:13]
	v_fma_f64 v[28:29], v[8:9], -0.5, v[2:3]
	v_add_f64 v[2:3], v[2:3], v[14:15]
	v_add_f64 v[14:15], v[14:15], -v[22:23]
	v_add_f64 v[0:1], v[0:1], v[20:21]
	v_add_f64 v[20:21], v[12:13], -v[20:21]
	v_add_f64 v[2:3], v[2:3], v[22:23]
	v_fma_f64 v[8:9], v[14:15], s[0:1], v[10:11]
	v_fma_f64 v[12:13], v[14:15], s[4:5], v[10:11]
	;; [unrolled: 1-line block ×4, first 2 shown]
	v_add_f64 v[20:21], v[16:17], v[24:25]
	v_add_f64 v[22:23], v[18:19], v[26:27]
	s_waitcnt lgkmcnt(0)
	v_fma_f64 v[20:21], v[20:21], -0.5, v[4:5]
	v_add_f64 v[4:5], v[4:5], v[16:17]
	v_fma_f64 v[22:23], v[22:23], -0.5, v[6:7]
	v_add_f64 v[6:7], v[6:7], v[18:19]
	v_add_f64 v[18:19], v[18:19], -v[26:27]
	v_add_f64 v[4:5], v[4:5], v[24:25]
	v_add_f64 v[24:25], v[16:17], -v[24:25]
	v_add_f64 v[6:7], v[6:7], v[26:27]
	v_fma_f64 v[16:17], v[18:19], s[0:1], v[20:21]
	v_fma_f64 v[20:21], v[18:19], s[4:5], v[20:21]
	;; [unrolled: 1-line block ×4, first 2 shown]
	ds_read_b128 v[24:27], v190 offset:3168
	ds_read_b128 v[28:31], v190 offset:4752
	s_waitcnt lgkmcnt(1)
	v_fma_f64 v[42:43], v[42:43], -0.5, v[26:27]
	v_add_f64 v[26:27], v[26:27], v[34:35]
	v_fma_f64 v[40:41], v[40:41], -0.5, v[24:25]
	v_add_f64 v[24:25], v[24:25], v[32:33]
	v_add_f64 v[34:35], v[34:35], -v[38:39]
	v_add_f64 v[26:27], v[26:27], v[38:39]
	v_add_f64 v[38:39], v[32:33], -v[36:37]
	v_add_f64 v[24:25], v[24:25], v[36:37]
	v_fma_f64 v[32:33], v[34:35], s[0:1], v[40:41]
	v_fma_f64 v[36:37], v[34:35], s[4:5], v[40:41]
	;; [unrolled: 1-line block ×4, first 2 shown]
	ds_read_b128 v[40:43], v190 offset:6336
	ds_read_b128 v[44:47], v190 offset:7920
	s_waitcnt lgkmcnt(0)
	s_barrier
	buffer_gl0_inv
	ds_write_b128 v190, v[0:3]
	ds_write_b128 v190, v[8:11] offset:1584
	ds_write_b128 v190, v[12:15] offset:3168
	;; [unrolled: 1-line block ×5, first 2 shown]
	buffer_load_dword v0, off, s[40:43], 0 offset:736 ; 4-byte Folded Reload
	v_add_f64 v[4:5], v[28:29], v[48:49]
	v_add_f64 v[8:9], v[50:51], -v[54:55]
	v_add_f64 v[12:13], v[48:49], -v[52:53]
	s_waitcnt vmcnt(0)
	ds_write_b128 v0, v[24:27] offset:9504
	ds_write_b128 v0, v[32:35] offset:11088
	;; [unrolled: 1-line block ×3, first 2 shown]
	v_add_f64 v[0:1], v[48:49], v[52:53]
	v_fma_f64 v[6:7], v[0:1], -0.5, v[28:29]
	v_add_f64 v[0:1], v[50:51], v[54:55]
	v_fma_f64 v[10:11], v[0:1], -0.5, v[30:31]
	v_add_f64 v[0:1], v[30:31], v[50:51]
	v_add_f64 v[2:3], v[0:1], v[54:55]
	;; [unrolled: 1-line block ×3, first 2 shown]
	v_fma_f64 v[4:5], v[8:9], s[0:1], v[6:7]
	v_fma_f64 v[8:9], v[8:9], s[4:5], v[6:7]
	;; [unrolled: 1-line block ×4, first 2 shown]
	buffer_load_dword v12, off, s[40:43], 0 offset:732 ; 4-byte Folded Reload
	s_waitcnt vmcnt(0)
	ds_write_b128 v12, v[0:3] offset:14256
	ds_write_b128 v12, v[4:7] offset:15840
	;; [unrolled: 1-line block ×3, first 2 shown]
	v_add_f64 v[0:1], v[56:57], v[60:61]
	v_add_f64 v[4:5], v[40:41], v[56:57]
	v_add_f64 v[8:9], v[58:59], -v[62:63]
	v_add_f64 v[12:13], v[56:57], -v[60:61]
	v_fma_f64 v[6:7], v[0:1], -0.5, v[40:41]
	v_add_f64 v[0:1], v[58:59], v[62:63]
	v_fma_f64 v[10:11], v[0:1], -0.5, v[42:43]
	v_add_f64 v[0:1], v[42:43], v[58:59]
	v_add_f64 v[2:3], v[0:1], v[62:63]
	;; [unrolled: 1-line block ×3, first 2 shown]
	v_fma_f64 v[4:5], v[8:9], s[0:1], v[6:7]
	v_fma_f64 v[8:9], v[8:9], s[4:5], v[6:7]
	;; [unrolled: 1-line block ×4, first 2 shown]
	buffer_load_dword v12, off, s[40:43], 0 offset:728 ; 4-byte Folded Reload
	s_waitcnt vmcnt(0)
	ds_write_b128 v12, v[0:3] offset:19008
	ds_write_b128 v12, v[4:7] offset:20592
	;; [unrolled: 1-line block ×3, first 2 shown]
	v_add_f64 v[0:1], v[64:65], v[68:69]
	v_add_f64 v[4:5], v[44:45], v[64:65]
	v_add_f64 v[8:9], v[66:67], -v[70:71]
	v_add_f64 v[12:13], v[64:65], -v[68:69]
	v_fma_f64 v[6:7], v[0:1], -0.5, v[44:45]
	v_add_f64 v[0:1], v[66:67], v[70:71]
	v_fma_f64 v[10:11], v[0:1], -0.5, v[46:47]
	v_add_f64 v[0:1], v[46:47], v[66:67]
	v_add_f64 v[2:3], v[0:1], v[70:71]
	;; [unrolled: 1-line block ×3, first 2 shown]
	v_fma_f64 v[4:5], v[8:9], s[0:1], v[6:7]
	v_fma_f64 v[8:9], v[8:9], s[4:5], v[6:7]
	;; [unrolled: 1-line block ×4, first 2 shown]
	buffer_load_dword v12, off, s[40:43], 0 offset:724 ; 4-byte Folded Reload
	s_waitcnt vmcnt(0)
	ds_write_b128 v12, v[0:3] offset:23760
	ds_write_b128 v12, v[4:7] offset:25344
	;; [unrolled: 1-line block ×3, first 2 shown]
	s_waitcnt lgkmcnt(0)
	s_barrier
	buffer_gl0_inv
	ds_read_b128 v[0:3], v190 offset:9504
	ds_read_b128 v[4:7], v190 offset:11088
	;; [unrolled: 1-line block ×3, first 2 shown]
	s_waitcnt lgkmcnt(2)
	v_mul_f64 v[12:13], v[118:119], v[2:3]
	v_mul_f64 v[14:15], v[118:119], v[0:1]
	v_fma_f64 v[20:21], v[116:117], v[0:1], v[12:13]
	v_fma_f64 v[22:23], v[116:117], v[2:3], -v[14:15]
	ds_read_b128 v[0:3], v190 offset:12672
	s_waitcnt lgkmcnt(1)
	v_mul_f64 v[12:13], v[118:119], v[10:11]
	v_fma_f64 v[40:41], v[116:117], v[8:9], v[12:13]
	v_mul_f64 v[8:9], v[118:119], v[8:9]
	v_fma_f64 v[42:43], v[116:117], v[10:11], -v[8:9]
	ds_read_b128 v[8:11], v190 offset:19008
	ds_read_b128 v[12:15], v190 offset:20592
	s_waitcnt lgkmcnt(1)
	v_mul_f64 v[16:17], v[114:115], v[10:11]
	v_fma_f64 v[24:25], v[112:113], v[8:9], v[16:17]
	v_mul_f64 v[8:9], v[114:115], v[8:9]
	v_fma_f64 v[26:27], v[112:113], v[10:11], -v[8:9]
	ds_read_b128 v[8:11], v190 offset:23760
	ds_read_b128 v[16:19], v190 offset:22176
	s_waitcnt lgkmcnt(1)
	v_mul_f64 v[28:29], v[114:115], v[10:11]
	v_fma_f64 v[44:45], v[112:113], v[8:9], v[28:29]
	v_mul_f64 v[8:9], v[114:115], v[8:9]
	v_fma_f64 v[46:47], v[112:113], v[10:11], -v[8:9]
	v_mul_f64 v[8:9], v[130:131], v[6:7]
	v_fma_f64 v[28:29], v[128:129], v[4:5], v[8:9]
	v_mul_f64 v[4:5], v[130:131], v[4:5]
	v_fma_f64 v[30:31], v[128:129], v[6:7], -v[4:5]
	ds_read_b128 v[4:7], v190 offset:15840
	ds_read_b128 v[8:11], v190 offset:17424
	s_waitcnt lgkmcnt(1)
	v_mul_f64 v[32:33], v[130:131], v[6:7]
	v_fma_f64 v[56:57], v[128:129], v[4:5], v[32:33]
	v_mul_f64 v[4:5], v[130:131], v[4:5]
	v_fma_f64 v[58:59], v[128:129], v[6:7], -v[4:5]
	v_mul_f64 v[4:5], v[122:123], v[14:15]
	v_fma_f64 v[32:33], v[120:121], v[12:13], v[4:5]
	v_mul_f64 v[4:5], v[122:123], v[12:13]
	v_fma_f64 v[34:35], v[120:121], v[14:15], -v[4:5]
	ds_read_b128 v[4:7], v190 offset:25344
	ds_read_b128 v[12:15], v190 offset:26928
	s_waitcnt lgkmcnt(1)
	v_mul_f64 v[36:37], v[122:123], v[6:7]
	v_fma_f64 v[60:61], v[120:121], v[4:5], v[36:37]
	v_mul_f64 v[4:5], v[122:123], v[4:5]
	v_add_f64 v[72:73], v[56:57], v[60:61]
	v_fma_f64 v[62:63], v[120:121], v[6:7], -v[4:5]
	v_mul_f64 v[4:5], v[134:135], v[2:3]
	v_add_f64 v[74:75], v[58:59], v[62:63]
	v_fma_f64 v[36:37], v[132:133], v[0:1], v[4:5]
	v_mul_f64 v[0:1], v[134:135], v[0:1]
	v_fma_f64 v[38:39], v[132:133], v[2:3], -v[0:1]
	v_mul_f64 v[0:1], v[134:135], v[10:11]
	v_fma_f64 v[64:65], v[132:133], v[8:9], v[0:1]
	v_mul_f64 v[0:1], v[134:135], v[8:9]
	v_add_f64 v[8:9], v[20:21], v[24:25]
	v_fma_f64 v[66:67], v[132:133], v[10:11], -v[0:1]
	v_mul_f64 v[0:1], v[126:127], v[18:19]
	v_fma_f64 v[48:49], v[124:125], v[16:17], v[0:1]
	v_mul_f64 v[0:1], v[126:127], v[16:17]
	v_add_f64 v[16:17], v[20:21], -v[24:25]
	v_fma_f64 v[50:51], v[124:125], v[18:19], -v[0:1]
	s_waitcnt lgkmcnt(0)
	v_mul_f64 v[0:1], v[126:127], v[14:15]
	v_fma_f64 v[68:69], v[124:125], v[12:13], v[0:1]
	v_mul_f64 v[0:1], v[126:127], v[12:13]
	v_add_f64 v[12:13], v[22:23], -v[26:27]
	v_fma_f64 v[70:71], v[124:125], v[14:15], -v[0:1]
	ds_read_b128 v[0:3], v190
	ds_read_b128 v[4:7], v190 offset:1584
	s_waitcnt lgkmcnt(1)
	v_fma_f64 v[10:11], v[8:9], -0.5, v[0:1]
	v_add_f64 v[8:9], v[22:23], v[26:27]
	v_add_f64 v[0:1], v[0:1], v[20:21]
	v_add_f64 v[20:21], v[30:31], -v[34:35]
	v_fma_f64 v[14:15], v[8:9], -0.5, v[2:3]
	v_fma_f64 v[8:9], v[12:13], s[0:1], v[10:11]
	v_fma_f64 v[12:13], v[12:13], s[4:5], v[10:11]
	v_add_f64 v[2:3], v[2:3], v[22:23]
	v_add_f64 v[0:1], v[0:1], v[24:25]
	v_add_f64 v[24:25], v[28:29], -v[32:33]
	v_fma_f64 v[10:11], v[16:17], s[4:5], v[14:15]
	v_fma_f64 v[14:15], v[16:17], s[0:1], v[14:15]
	v_add_f64 v[16:17], v[28:29], v[32:33]
	v_add_f64 v[2:3], v[2:3], v[26:27]
	s_waitcnt lgkmcnt(0)
	v_fma_f64 v[18:19], v[16:17], -0.5, v[4:5]
	v_add_f64 v[16:17], v[30:31], v[34:35]
	v_add_f64 v[4:5], v[4:5], v[28:29]
	v_fma_f64 v[22:23], v[16:17], -0.5, v[6:7]
	v_add_f64 v[6:7], v[6:7], v[30:31]
	v_add_f64 v[4:5], v[4:5], v[32:33]
	;; [unrolled: 1-line block ×3, first 2 shown]
	v_fma_f64 v[16:17], v[20:21], s[0:1], v[18:19]
	v_fma_f64 v[20:21], v[20:21], s[4:5], v[18:19]
	;; [unrolled: 1-line block ×4, first 2 shown]
	ds_read_b128 v[24:27], v190 offset:3168
	ds_read_b128 v[28:31], v190 offset:4752
	v_add_f64 v[6:7], v[6:7], v[34:35]
	s_waitcnt lgkmcnt(1)
	v_fma_f64 v[34:35], v[32:33], -0.5, v[24:25]
	v_add_f64 v[32:33], v[38:39], v[50:51]
	v_add_f64 v[24:25], v[24:25], v[36:37]
	v_fma_f64 v[52:53], v[32:33], -0.5, v[26:27]
	v_add_f64 v[26:27], v[26:27], v[38:39]
	v_add_f64 v[38:39], v[38:39], -v[50:51]
	v_add_f64 v[24:25], v[24:25], v[48:49]
	v_add_f64 v[48:49], v[36:37], -v[48:49]
	v_add_f64 v[26:27], v[26:27], v[50:51]
	v_add_f64 v[50:51], v[42:43], v[46:47]
	v_fma_f64 v[32:33], v[38:39], s[0:1], v[34:35]
	v_fma_f64 v[36:37], v[38:39], s[4:5], v[34:35]
	;; [unrolled: 1-line block ×4, first 2 shown]
	v_add_f64 v[48:49], v[40:41], v[44:45]
	s_waitcnt lgkmcnt(0)
	v_fma_f64 v[50:51], v[50:51], -0.5, v[30:31]
	v_add_f64 v[30:31], v[30:31], v[42:43]
	v_add_f64 v[42:43], v[42:43], -v[46:47]
	v_fma_f64 v[48:49], v[48:49], -0.5, v[28:29]
	v_add_f64 v[28:29], v[28:29], v[40:41]
	v_add_f64 v[30:31], v[30:31], v[46:47]
	v_add_f64 v[46:47], v[40:41], -v[44:45]
	v_fma_f64 v[40:41], v[42:43], s[0:1], v[48:49]
	v_add_f64 v[28:29], v[28:29], v[44:45]
	v_fma_f64 v[44:45], v[42:43], s[4:5], v[48:49]
	v_fma_f64 v[42:43], v[46:47], s[4:5], v[50:51]
	;; [unrolled: 1-line block ×3, first 2 shown]
	ds_read_b128 v[48:51], v190 offset:6336
	ds_read_b128 v[52:55], v190 offset:7920
	s_waitcnt lgkmcnt(0)
	s_barrier
	buffer_gl0_inv
	v_fma_f64 v[74:75], v[74:75], -0.5, v[50:51]
	v_add_f64 v[50:51], v[50:51], v[58:59]
	v_fma_f64 v[72:73], v[72:73], -0.5, v[48:49]
	v_add_f64 v[48:49], v[48:49], v[56:57]
	v_add_f64 v[58:59], v[58:59], -v[62:63]
	v_add_f64 v[50:51], v[50:51], v[62:63]
	v_add_f64 v[62:63], v[56:57], -v[60:61]
	v_add_f64 v[48:49], v[48:49], v[60:61]
	v_fma_f64 v[56:57], v[58:59], s[0:1], v[72:73]
	v_fma_f64 v[60:61], v[58:59], s[4:5], v[72:73]
	v_add_f64 v[72:73], v[64:65], v[68:69]
	v_fma_f64 v[58:59], v[62:63], s[4:5], v[74:75]
	v_fma_f64 v[62:63], v[62:63], s[0:1], v[74:75]
	v_add_f64 v[74:75], v[66:67], v[70:71]
	v_fma_f64 v[72:73], v[72:73], -0.5, v[52:53]
	v_add_f64 v[52:53], v[52:53], v[64:65]
	v_fma_f64 v[74:75], v[74:75], -0.5, v[54:55]
	v_add_f64 v[54:55], v[54:55], v[66:67]
	v_add_f64 v[66:67], v[66:67], -v[70:71]
	v_add_f64 v[52:53], v[52:53], v[68:69]
	v_add_f64 v[54:55], v[54:55], v[70:71]
	v_add_f64 v[70:71], v[64:65], -v[68:69]
	v_fma_f64 v[64:65], v[66:67], s[0:1], v[72:73]
	v_fma_f64 v[68:69], v[66:67], s[4:5], v[72:73]
	;; [unrolled: 1-line block ×4, first 2 shown]
	ds_write_b128 v190, v[0:3]
	ds_write_b128 v190, v[8:11] offset:4752
	ds_write_b128 v190, v[12:15] offset:9504
	;; [unrolled: 1-line block ×17, first 2 shown]
	s_waitcnt lgkmcnt(0)
	s_barrier
	buffer_gl0_inv
	ds_read_b128 v[0:3], v190 offset:14256
	ds_read_b128 v[4:7], v190 offset:15840
	;; [unrolled: 1-line block ×4, first 2 shown]
	s_clause 0x3
	buffer_load_dword v38, off, s[40:43], 0 offset:532
	buffer_load_dword v39, off, s[40:43], 0 offset:536
	;; [unrolled: 1-line block ×4, first 2 shown]
	ds_read_b128 v[16:19], v190 offset:19008
	s_clause 0x3
	buffer_load_dword v46, off, s[40:43], 0 offset:516
	buffer_load_dword v47, off, s[40:43], 0 offset:520
	;; [unrolled: 1-line block ×4, first 2 shown]
	ds_read_b128 v[20:23], v190 offset:20592
	s_mov_b32 s4, 0x7210aa18
	s_mov_b32 s5, 0x3f426369
	s_mul_hi_u32 s1, s8, 0xa2
	s_waitcnt lgkmcnt(3)
	v_mul_f64 v[32:33], v[202:203], v[10:11]
	v_mul_f64 v[34:35], v[202:203], v[8:9]
	s_waitcnt lgkmcnt(1)
	v_mul_f64 v[42:43], v[194:195], v[16:17]
	v_fma_f64 v[50:51], v[200:201], v[10:11], -v[34:35]
	v_fma_f64 v[54:55], v[192:193], v[18:19], -v[42:43]
	s_waitcnt vmcnt(4)
	v_mul_f64 v[24:25], v[40:41], v[2:3]
	v_mul_f64 v[26:27], v[40:41], v[0:1]
	s_waitcnt vmcnt(0)
	v_mul_f64 v[28:29], v[48:49], v[6:7]
	v_mul_f64 v[30:31], v[48:49], v[4:5]
	;; [unrolled: 1-line block ×3, first 2 shown]
	v_fma_f64 v[48:49], v[200:201], v[8:9], v[32:33]
	ds_read_b128 v[8:11], v190 offset:26928
	v_fma_f64 v[36:37], v[38:39], v[0:1], v[24:25]
	v_fma_f64 v[38:39], v[38:39], v[2:3], -v[26:27]
	ds_read_b128 v[0:3], v190 offset:22176
	ds_read_b128 v[24:27], v190 offset:23760
	v_fma_f64 v[44:45], v[46:47], v[4:5], v[28:29]
	v_fma_f64 v[46:47], v[46:47], v[6:7], -v[30:31]
	ds_read_b128 v[4:7], v190 offset:25344
	s_waitcnt lgkmcnt(4)
	v_mul_f64 v[28:29], v[206:207], v[22:23]
	v_mul_f64 v[30:31], v[206:207], v[20:21]
	v_fma_f64 v[52:53], v[192:193], v[16:17], v[40:41]
	s_waitcnt lgkmcnt(3)
	v_mul_f64 v[64:65], v[218:219], v[10:11]
	v_mul_f64 v[66:67], v[218:219], v[8:9]
	ds_read_b128 v[16:19], v190
	s_waitcnt lgkmcnt(3)
	v_mul_f64 v[32:33], v[198:199], v[2:3]
	v_mul_f64 v[34:35], v[198:199], v[0:1]
	s_waitcnt lgkmcnt(2)
	v_mul_f64 v[40:41], v[214:215], v[26:27]
	v_mul_f64 v[42:43], v[214:215], v[24:25]
	;; [unrolled: 3-line block ×3, first 2 shown]
	v_fma_f64 v[58:59], v[204:205], v[20:21], v[28:29]
	v_fma_f64 v[62:63], v[204:205], v[22:23], -v[30:31]
	ds_read_b128 v[20:23], v190 offset:3168
	ds_read_b128 v[28:31], v190 offset:6336
	v_fma_f64 v[80:81], v[216:217], v[8:9], v[64:65]
	v_fma_f64 v[82:83], v[216:217], v[10:11], -v[66:67]
	ds_read_b128 v[8:11], v190 offset:11088
	v_fma_f64 v[68:69], v[196:197], v[0:1], v[32:33]
	v_fma_f64 v[70:71], v[196:197], v[2:3], -v[34:35]
	;; [unrolled: 3-line block ×4, first 2 shown]
	ds_read_b128 v[4:7], v190 offset:7920
	ds_read_b128 v[32:35], v190 offset:9504
	s_waitcnt lgkmcnt(7)
	v_add_f64 v[36:37], v[16:17], -v[36:37]
	v_add_f64 v[38:39], v[18:19], -v[38:39]
	s_waitcnt lgkmcnt(3)
	v_add_f64 v[40:41], v[0:1], -v[44:45]
	v_add_f64 v[42:43], v[2:3], -v[46:47]
	v_add_f64 v[44:45], v[20:21], -v[48:49]
	v_add_f64 v[46:47], v[22:23], -v[50:51]
	s_waitcnt lgkmcnt(2)
	v_add_f64 v[48:49], v[24:25], -v[52:53]
	v_add_f64 v[50:51], v[26:27], -v[54:55]
	;; [unrolled: 5-line block ×3, first 2 shown]
	s_waitcnt lgkmcnt(0)
	v_add_f64 v[60:61], v[32:33], -v[72:73]
	v_add_f64 v[62:63], v[34:35], -v[74:75]
	;; [unrolled: 1-line block ×6, first 2 shown]
	v_fma_f64 v[16:17], v[16:17], 2.0, -v[36:37]
	v_fma_f64 v[18:19], v[18:19], 2.0, -v[38:39]
	;; [unrolled: 1-line block ×18, first 2 shown]
	ds_write_b128 v190, v[16:19]
	ds_write_b128 v190, v[36:39] offset:14256
	ds_write_b128 v190, v[0:3] offset:1584
	;; [unrolled: 1-line block ×17, first 2 shown]
	s_waitcnt lgkmcnt(0)
	s_barrier
	buffer_gl0_inv
	ds_read_b128 v[0:3], v190
	ds_read_b128 v[4:7], v190 offset:2592
	s_clause 0xa
	buffer_load_dword v18, off, s[40:43], 0 offset:132
	buffer_load_dword v19, off, s[40:43], 0 offset:136
	;; [unrolled: 1-line block ×11, first 2 shown]
	s_waitcnt vmcnt(7) lgkmcnt(1)
	v_mul_f64 v[8:9], v[20:21], v[2:3]
	v_mul_f64 v[10:11], v[20:21], v[0:1]
	s_waitcnt vmcnt(6)
	v_mov_b32_e32 v14, v12
	s_waitcnt vmcnt(0) lgkmcnt(0)
	v_mul_f64 v[20:21], v[30:31], v[6:7]
	v_mul_f64 v[22:23], v[30:31], v[4:5]
	v_mad_u64_u32 v[16:17], null, s10, v14, 0
	v_mov_b32_e32 v12, v17
	v_fma_f64 v[8:9], v[18:19], v[0:1], v[8:9]
	v_fma_f64 v[10:11], v[18:19], v[2:3], -v[10:11]
	v_mad_u64_u32 v[18:19], null, s8, v24, 0
	ds_read_b128 v[0:3], v190 offset:5184
	v_fma_f64 v[20:21], v[28:29], v[4:5], v[20:21]
	v_mov_b32_e32 v13, v19
	v_mad_u64_u32 v[14:15], null, s11, v14, v[12:13]
	v_mul_f64 v[8:9], v[8:9], s[4:5]
	v_mad_u64_u32 v[12:13], null, s9, v24, v[13:14]
	v_mov_b32_e32 v17, v14
	v_mul_f64 v[10:11], v[10:11], s[4:5]
	v_lshlrev_b64 v[4:5], 4, v[16:17]
	v_mov_b32_e32 v19, v12
	ds_read_b128 v[12:15], v190 offset:7776
	s_clause 0x3
	buffer_load_dword v30, off, s[40:43], 0 offset:276
	buffer_load_dword v31, off, s[40:43], 0 offset:280
	;; [unrolled: 1-line block ×4, first 2 shown]
	v_lshlrev_b64 v[16:17], 4, v[18:19]
	v_fma_f64 v[18:19], v[28:29], v[6:7], -v[22:23]
	v_add_co_u32 v22, s0, s2, v4
	v_add_co_ci_u32_e64 v23, s0, s3, v5, s0
	ds_read_b128 v[4:7], v190 offset:10368
	v_add_co_u32 v28, s0, v22, v16
	v_add_co_ci_u32_e64 v29, s0, v23, v17, s0
	s_mul_i32 s0, s9, 0xa2
	s_add_i32 s1, s1, s0
	global_store_dwordx4 v[28:29], v[8:11], off
	s_clause 0x3
	buffer_load_dword v50, off, s[40:43], 0 offset:212
	buffer_load_dword v51, off, s[40:43], 0 offset:216
	;; [unrolled: 1-line block ×4, first 2 shown]
	s_mul_i32 s0, s8, 0xa2
	ds_read_b128 v[8:11], v190 offset:12960
	s_lshl_b64 s[2:3], s[0:1], 4
	s_clause 0x3
	buffer_load_dword v56, off, s[40:43], 0 offset:196
	buffer_load_dword v57, off, s[40:43], 0 offset:200
	;; [unrolled: 1-line block ×4, first 2 shown]
	v_add_co_u32 v48, s0, v28, s2
	v_add_co_ci_u32_e64 v49, s0, s3, v29, s0
	s_waitcnt vmcnt(8) lgkmcnt(3)
	v_mul_f64 v[24:25], v[32:33], v[2:3]
	v_mul_f64 v[26:27], v[32:33], v[0:1]
	s_waitcnt vmcnt(4) lgkmcnt(2)
	v_mul_f64 v[40:41], v[52:53], v[14:15]
	v_mul_f64 v[42:43], v[52:53], v[12:13]
	v_fma_f64 v[32:33], v[30:31], v[0:1], v[24:25]
	v_mul_f64 v[0:1], v[20:21], s[4:5]
	v_fma_f64 v[34:35], v[30:31], v[2:3], -v[26:27]
	v_mul_f64 v[2:3], v[18:19], s[4:5]
	ds_read_b128 v[16:19], v190 offset:15552
	ds_read_b128 v[20:23], v190 offset:18144
	;; [unrolled: 1-line block ×5, first 2 shown]
	s_clause 0xb
	buffer_load_dword v76, off, s[40:43], 0 offset:180
	buffer_load_dword v77, off, s[40:43], 0 offset:184
	;; [unrolled: 1-line block ×12, first 2 shown]
	s_waitcnt vmcnt(12) lgkmcnt(6)
	v_mul_f64 v[44:45], v[58:59], v[6:7]
	v_mul_f64 v[46:47], v[58:59], v[4:5]
	v_fma_f64 v[12:13], v[50:51], v[12:13], v[40:41]
	v_fma_f64 v[14:15], v[50:51], v[14:15], -v[42:43]
	v_add_co_u32 v50, s0, v48, s2
	v_mul_f64 v[32:33], v[32:33], s[4:5]
	v_add_co_ci_u32_e64 v51, s0, s3, v49, s0
	v_mul_f64 v[34:35], v[34:35], s[4:5]
	v_fma_f64 v[4:5], v[56:57], v[4:5], v[44:45]
	v_fma_f64 v[6:7], v[56:57], v[6:7], -v[46:47]
	v_mul_f64 v[4:5], v[4:5], s[4:5]
	v_mul_f64 v[6:7], v[6:7], s[4:5]
	s_waitcnt vmcnt(8) lgkmcnt(5)
	v_mul_f64 v[40:41], v[78:79], v[10:11]
	v_mul_f64 v[42:43], v[78:79], v[8:9]
	s_clause 0x3
	buffer_load_dword v78, off, s[40:43], 0 offset:228
	buffer_load_dword v79, off, s[40:43], 0 offset:232
	;; [unrolled: 1-line block ×4, first 2 shown]
	s_waitcnt vmcnt(8) lgkmcnt(4)
	v_mul_f64 v[52:53], v[74:75], v[18:19]
	v_mul_f64 v[54:55], v[74:75], v[16:17]
	s_waitcnt vmcnt(4) lgkmcnt(3)
	v_mul_f64 v[44:45], v[70:71], v[22:23]
	v_mul_f64 v[46:47], v[70:71], v[20:21]
	v_fma_f64 v[8:9], v[76:77], v[8:9], v[40:41]
	v_fma_f64 v[10:11], v[76:77], v[10:11], -v[42:43]
	v_mul_f64 v[8:9], v[8:9], s[4:5]
	v_mul_f64 v[10:11], v[10:11], s[4:5]
	s_waitcnt vmcnt(0) lgkmcnt(2)
	v_mul_f64 v[56:57], v[80:81], v[26:27]
	v_mul_f64 v[58:59], v[80:81], v[24:25]
	s_clause 0x3
	buffer_load_dword v80, off, s[40:43], 0 offset:244
	buffer_load_dword v81, off, s[40:43], 0 offset:248
	;; [unrolled: 1-line block ×4, first 2 shown]
	s_waitcnt vmcnt(0) lgkmcnt(1)
	v_mul_f64 v[60:61], v[82:83], v[30:31]
	v_mul_f64 v[62:63], v[82:83], v[28:29]
	s_clause 0x3
	buffer_load_dword v82, off, s[40:43], 0 offset:260
	buffer_load_dword v83, off, s[40:43], 0 offset:264
	;; [unrolled: 1-line block ×4, first 2 shown]
	global_store_dwordx4 v[48:49], v[0:3], off
	global_store_dwordx4 v[50:51], v[32:35], off
	v_mul_f64 v[0:1], v[12:13], s[4:5]
	v_mul_f64 v[2:3], v[14:15], s[4:5]
	v_fma_f64 v[12:13], v[72:73], v[16:17], v[52:53]
	v_fma_f64 v[14:15], v[72:73], v[18:19], -v[54:55]
	v_fma_f64 v[16:17], v[68:69], v[20:21], v[44:45]
	v_fma_f64 v[18:19], v[68:69], v[22:23], -v[46:47]
	v_add_co_u32 v32, s0, v50, s2
	v_fma_f64 v[20:21], v[78:79], v[24:25], v[56:57]
	v_fma_f64 v[22:23], v[78:79], v[26:27], -v[58:59]
	v_add_co_ci_u32_e64 v33, s0, s3, v51, s0
	v_add_co_u32 v34, s0, v32, s2
	v_add_co_ci_u32_e64 v35, s0, s3, v33, s0
	v_fma_f64 v[24:25], v[80:81], v[28:29], v[60:61]
	v_fma_f64 v[26:27], v[80:81], v[30:31], -v[62:63]
	global_store_dwordx4 v[32:33], v[0:3], off
	v_mul_f64 v[12:13], v[12:13], s[4:5]
	v_mul_f64 v[14:15], v[14:15], s[4:5]
	;; [unrolled: 1-line block ×4, first 2 shown]
	global_store_dwordx4 v[34:35], v[4:7], off
	v_mul_f64 v[20:21], v[20:21], s[4:5]
	v_mul_f64 v[22:23], v[22:23], s[4:5]
	;; [unrolled: 1-line block ×4, first 2 shown]
	s_waitcnt vmcnt(0) lgkmcnt(0)
	v_mul_f64 v[64:65], v[84:85], v[38:39]
	v_mul_f64 v[66:67], v[84:85], v[36:37]
	v_fma_f64 v[28:29], v[82:83], v[36:37], v[64:65]
	v_fma_f64 v[30:31], v[82:83], v[38:39], -v[66:67]
	v_add_co_u32 v36, s0, v34, s2
	v_add_co_ci_u32_e64 v37, s0, s3, v35, s0
	v_add_co_u32 v38, s0, v36, s2
	v_add_co_ci_u32_e64 v39, s0, s3, v37, s0
	global_store_dwordx4 v[36:37], v[8:11], off
	v_add_co_u32 v40, s0, v38, s2
	v_add_co_ci_u32_e64 v41, s0, s3, v39, s0
	v_add_co_u32 v2, s0, v40, s2
	v_add_co_ci_u32_e64 v3, s0, s3, v41, s0
	v_mul_f64 v[28:29], v[28:29], s[4:5]
	v_mul_f64 v[30:31], v[30:31], s[4:5]
	v_add_co_u32 v4, s0, v2, s2
	v_add_co_ci_u32_e64 v5, s0, s3, v3, s0
	v_add_co_u32 v0, s0, v4, s2
	v_add_co_ci_u32_e64 v1, s0, s3, v5, s0
	global_store_dwordx4 v[38:39], v[12:15], off
	global_store_dwordx4 v[40:41], v[16:19], off
	;; [unrolled: 1-line block ×5, first 2 shown]
	s_and_b32 exec_lo, exec_lo, vcc_lo
	s_cbranch_execz .LBB0_15
; %bb.14:
	global_load_dwordx4 v[2:5], v[88:89], off offset:1584
	ds_read_b128 v[6:9], v190 offset:1584
	ds_read_b128 v[10:13], v190 offset:4176
	s_mul_i32 s0, s9, 0xffffa0f0
	s_sub_i32 s0, s0, s8
	s_waitcnt vmcnt(0) lgkmcnt(1)
	v_mul_f64 v[14:15], v[8:9], v[4:5]
	v_mul_f64 v[4:5], v[6:7], v[4:5]
	v_fma_f64 v[6:7], v[6:7], v[2:3], v[14:15]
	v_fma_f64 v[4:5], v[2:3], v[8:9], -v[4:5]
	v_mul_f64 v[2:3], v[6:7], s[4:5]
	v_mul_f64 v[4:5], v[4:5], s[4:5]
	v_mad_u64_u32 v[6:7], null, 0xffffa0f0, s8, v[0:1]
	v_add_nc_u32_e32 v7, s0, v7
	global_store_dwordx4 v[6:7], v[2:5], off
	s_clause 0x1
	buffer_load_dword v0, off, s[40:43], 0 offset:104
	buffer_load_dword v1, off, s[40:43], 0 offset:108
	s_waitcnt vmcnt(0)
	global_load_dwordx4 v[0:3], v[0:1], off offset:80
	s_waitcnt vmcnt(0) lgkmcnt(0)
	v_mul_f64 v[4:5], v[12:13], v[2:3]
	v_mul_f64 v[2:3], v[10:11], v[2:3]
	v_fma_f64 v[4:5], v[10:11], v[0:1], v[4:5]
	v_fma_f64 v[2:3], v[0:1], v[12:13], -v[2:3]
	v_add_co_u32 v12, vcc_lo, v6, s2
	v_add_co_ci_u32_e32 v13, vcc_lo, s3, v7, vcc_lo
	v_mul_f64 v[0:1], v[4:5], s[4:5]
	v_mul_f64 v[2:3], v[2:3], s[4:5]
	global_store_dwordx4 v[12:13], v[0:3], off
	s_clause 0x1
	buffer_load_dword v0, off, s[40:43], 0 offset:112
	buffer_load_dword v1, off, s[40:43], 0 offset:116
	s_waitcnt vmcnt(0)
	global_load_dwordx4 v[0:3], v[0:1], off offset:624
	ds_read_b128 v[4:7], v190 offset:6768
	ds_read_b128 v[8:11], v190 offset:9360
	s_waitcnt vmcnt(0) lgkmcnt(1)
	v_mul_f64 v[14:15], v[6:7], v[2:3]
	v_mul_f64 v[2:3], v[4:5], v[2:3]
	v_fma_f64 v[4:5], v[4:5], v[0:1], v[14:15]
	v_fma_f64 v[2:3], v[0:1], v[6:7], -v[2:3]
	v_mul_f64 v[0:1], v[4:5], s[4:5]
	v_mul_f64 v[2:3], v[2:3], s[4:5]
	v_add_co_u32 v4, vcc_lo, v12, s2
	v_add_co_ci_u32_e32 v5, vcc_lo, s3, v13, vcc_lo
	v_add_co_u32 v6, vcc_lo, 0x2000, v88
	v_add_co_ci_u32_e32 v7, vcc_lo, 0, v89, vcc_lo
	;; [unrolled: 2-line block ×3, first 2 shown]
	global_store_dwordx4 v[4:5], v[0:3], off
	global_load_dwordx4 v[0:3], v[6:7], off offset:1168
	s_waitcnt vmcnt(0) lgkmcnt(0)
	v_mul_f64 v[6:7], v[10:11], v[2:3]
	v_mul_f64 v[2:3], v[8:9], v[2:3]
	v_fma_f64 v[6:7], v[8:9], v[0:1], v[6:7]
	v_fma_f64 v[2:3], v[0:1], v[10:11], -v[2:3]
	v_mul_f64 v[0:1], v[6:7], s[4:5]
	v_mul_f64 v[2:3], v[2:3], s[4:5]
	global_store_dwordx4 v[12:13], v[0:3], off
	s_clause 0x1
	buffer_load_dword v0, off, s[40:43], 0 offset:72
	buffer_load_dword v1, off, s[40:43], 0 offset:76
	s_waitcnt vmcnt(0)
	global_load_dwordx4 v[0:3], v[0:1], off offset:1712
	ds_read_b128 v[4:7], v190 offset:11952
	ds_read_b128 v[8:11], v190 offset:14544
	s_waitcnt vmcnt(0) lgkmcnt(1)
	v_mul_f64 v[14:15], v[6:7], v[2:3]
	v_mul_f64 v[2:3], v[4:5], v[2:3]
	v_fma_f64 v[4:5], v[4:5], v[0:1], v[14:15]
	v_fma_f64 v[2:3], v[0:1], v[6:7], -v[2:3]
	v_mul_f64 v[0:1], v[4:5], s[4:5]
	v_mul_f64 v[2:3], v[2:3], s[4:5]
	v_add_co_u32 v4, vcc_lo, v12, s2
	v_add_co_ci_u32_e32 v5, vcc_lo, s3, v13, vcc_lo
	v_add_co_u32 v12, vcc_lo, v4, s2
	v_add_co_ci_u32_e32 v13, vcc_lo, s3, v5, vcc_lo
	global_store_dwordx4 v[4:5], v[0:3], off
	s_clause 0x1
	buffer_load_dword v0, off, s[40:43], 0 offset:88
	buffer_load_dword v1, off, s[40:43], 0 offset:92
	s_waitcnt vmcnt(0)
	global_load_dwordx4 v[0:3], v[0:1], off offset:208
	s_waitcnt vmcnt(0) lgkmcnt(0)
	v_mul_f64 v[6:7], v[10:11], v[2:3]
	v_mul_f64 v[2:3], v[8:9], v[2:3]
	v_fma_f64 v[6:7], v[8:9], v[0:1], v[6:7]
	v_fma_f64 v[2:3], v[0:1], v[10:11], -v[2:3]
	v_mul_f64 v[0:1], v[6:7], s[4:5]
	v_mul_f64 v[2:3], v[2:3], s[4:5]
	global_store_dwordx4 v[12:13], v[0:3], off
	s_clause 0x1
	buffer_load_dword v0, off, s[40:43], 0 offset:80
	buffer_load_dword v1, off, s[40:43], 0 offset:84
	s_waitcnt vmcnt(0)
	global_load_dwordx4 v[0:3], v[0:1], off offset:752
	ds_read_b128 v[4:7], v190 offset:17136
	ds_read_b128 v[8:11], v190 offset:19728
	s_waitcnt vmcnt(0) lgkmcnt(1)
	v_mul_f64 v[14:15], v[6:7], v[2:3]
	v_mul_f64 v[2:3], v[4:5], v[2:3]
	v_fma_f64 v[4:5], v[4:5], v[0:1], v[14:15]
	v_fma_f64 v[2:3], v[0:1], v[6:7], -v[2:3]
	v_mul_f64 v[0:1], v[4:5], s[4:5]
	v_mul_f64 v[2:3], v[2:3], s[4:5]
	v_add_co_u32 v4, vcc_lo, v12, s2
	v_add_co_ci_u32_e32 v5, vcc_lo, s3, v13, vcc_lo
	v_add_co_u32 v6, vcc_lo, 0x4800, v88
	v_add_co_ci_u32_e32 v7, vcc_lo, 0, v89, vcc_lo
	;; [unrolled: 2-line block ×3, first 2 shown]
	global_store_dwordx4 v[4:5], v[0:3], off
	global_load_dwordx4 v[0:3], v[6:7], off offset:1296
	s_waitcnt vmcnt(0) lgkmcnt(0)
	v_mul_f64 v[6:7], v[10:11], v[2:3]
	v_mul_f64 v[2:3], v[8:9], v[2:3]
	v_fma_f64 v[6:7], v[8:9], v[0:1], v[6:7]
	v_fma_f64 v[2:3], v[0:1], v[10:11], -v[2:3]
	v_mul_f64 v[0:1], v[6:7], s[4:5]
	v_mul_f64 v[2:3], v[2:3], s[4:5]
	global_store_dwordx4 v[12:13], v[0:3], off
	s_clause 0x1
	buffer_load_dword v0, off, s[40:43], 0 offset:64
	buffer_load_dword v1, off, s[40:43], 0 offset:68
	s_waitcnt vmcnt(0)
	global_load_dwordx4 v[0:3], v[0:1], off offset:1840
	ds_read_b128 v[4:7], v190 offset:22320
	ds_read_b128 v[8:11], v190 offset:24912
	s_waitcnt vmcnt(0) lgkmcnt(1)
	v_mul_f64 v[14:15], v[6:7], v[2:3]
	v_mul_f64 v[2:3], v[4:5], v[2:3]
	v_fma_f64 v[4:5], v[4:5], v[0:1], v[14:15]
	v_fma_f64 v[2:3], v[0:1], v[6:7], -v[2:3]
	v_mul_f64 v[0:1], v[4:5], s[4:5]
	v_mul_f64 v[2:3], v[2:3], s[4:5]
	v_add_co_u32 v4, vcc_lo, v12, s2
	v_add_co_ci_u32_e32 v5, vcc_lo, s3, v13, vcc_lo
	global_store_dwordx4 v[4:5], v[0:3], off
	s_clause 0x1
	buffer_load_dword v0, off, s[40:43], 0 offset:96
	buffer_load_dword v1, off, s[40:43], 0 offset:100
	s_waitcnt vmcnt(0)
	global_load_dwordx4 v[0:3], v[0:1], off offset:336
	s_waitcnt vmcnt(0) lgkmcnt(0)
	v_mul_f64 v[6:7], v[10:11], v[2:3]
	v_mul_f64 v[2:3], v[8:9], v[2:3]
	v_fma_f64 v[6:7], v[8:9], v[0:1], v[6:7]
	v_fma_f64 v[2:3], v[0:1], v[10:11], -v[2:3]
	v_add_co_u32 v8, vcc_lo, v4, s2
	v_add_co_ci_u32_e32 v9, vcc_lo, s3, v5, vcc_lo
	v_mul_f64 v[0:1], v[6:7], s[4:5]
	v_mul_f64 v[2:3], v[2:3], s[4:5]
	global_store_dwordx4 v[8:9], v[0:3], off
	s_clause 0x1
	buffer_load_dword v0, off, s[40:43], 0 offset:760
	buffer_load_dword v1, off, s[40:43], 0 offset:764
	ds_read_b128 v[4:7], v190 offset:27504
	s_waitcnt vmcnt(0)
	global_load_dwordx4 v[0:3], v[0:1], off offset:880
	s_waitcnt vmcnt(0) lgkmcnt(0)
	v_mul_f64 v[10:11], v[6:7], v[2:3]
	v_mul_f64 v[2:3], v[4:5], v[2:3]
	v_fma_f64 v[4:5], v[4:5], v[0:1], v[10:11]
	v_fma_f64 v[2:3], v[0:1], v[6:7], -v[2:3]
	v_mul_f64 v[0:1], v[4:5], s[4:5]
	v_mul_f64 v[2:3], v[2:3], s[4:5]
	v_add_co_u32 v4, vcc_lo, v8, s2
	v_add_co_ci_u32_e32 v5, vcc_lo, s3, v9, vcc_lo
	global_store_dwordx4 v[4:5], v[0:3], off
.LBB0_15:
	s_endpgm
	.section	.rodata,"a",@progbits
	.p2align	6, 0x0
	.amdhsa_kernel bluestein_single_back_len1782_dim1_dp_op_CI_CI
		.amdhsa_group_segment_fixed_size 28512
		.amdhsa_private_segment_fixed_size 772
		.amdhsa_kernarg_size 104
		.amdhsa_user_sgpr_count 6
		.amdhsa_user_sgpr_private_segment_buffer 1
		.amdhsa_user_sgpr_dispatch_ptr 0
		.amdhsa_user_sgpr_queue_ptr 0
		.amdhsa_user_sgpr_kernarg_segment_ptr 1
		.amdhsa_user_sgpr_dispatch_id 0
		.amdhsa_user_sgpr_flat_scratch_init 0
		.amdhsa_user_sgpr_private_segment_size 0
		.amdhsa_wavefront_size32 1
		.amdhsa_uses_dynamic_stack 0
		.amdhsa_system_sgpr_private_segment_wavefront_offset 1
		.amdhsa_system_sgpr_workgroup_id_x 1
		.amdhsa_system_sgpr_workgroup_id_y 0
		.amdhsa_system_sgpr_workgroup_id_z 0
		.amdhsa_system_sgpr_workgroup_info 0
		.amdhsa_system_vgpr_workitem_id 0
		.amdhsa_next_free_vgpr 256
		.amdhsa_next_free_sgpr 44
		.amdhsa_reserve_vcc 1
		.amdhsa_reserve_flat_scratch 0
		.amdhsa_float_round_mode_32 0
		.amdhsa_float_round_mode_16_64 0
		.amdhsa_float_denorm_mode_32 3
		.amdhsa_float_denorm_mode_16_64 3
		.amdhsa_dx10_clamp 1
		.amdhsa_ieee_mode 1
		.amdhsa_fp16_overflow 0
		.amdhsa_workgroup_processor_mode 1
		.amdhsa_memory_ordered 1
		.amdhsa_forward_progress 0
		.amdhsa_shared_vgpr_count 0
		.amdhsa_exception_fp_ieee_invalid_op 0
		.amdhsa_exception_fp_denorm_src 0
		.amdhsa_exception_fp_ieee_div_zero 0
		.amdhsa_exception_fp_ieee_overflow 0
		.amdhsa_exception_fp_ieee_underflow 0
		.amdhsa_exception_fp_ieee_inexact 0
		.amdhsa_exception_int_div_zero 0
	.end_amdhsa_kernel
	.text
.Lfunc_end0:
	.size	bluestein_single_back_len1782_dim1_dp_op_CI_CI, .Lfunc_end0-bluestein_single_back_len1782_dim1_dp_op_CI_CI
                                        ; -- End function
	.section	.AMDGPU.csdata,"",@progbits
; Kernel info:
; codeLenInByte = 36348
; NumSgprs: 46
; NumVgprs: 256
; ScratchSize: 772
; MemoryBound: 0
; FloatMode: 240
; IeeeMode: 1
; LDSByteSize: 28512 bytes/workgroup (compile time only)
; SGPRBlocks: 5
; VGPRBlocks: 31
; NumSGPRsForWavesPerEU: 46
; NumVGPRsForWavesPerEU: 256
; Occupancy: 4
; WaveLimiterHint : 1
; COMPUTE_PGM_RSRC2:SCRATCH_EN: 1
; COMPUTE_PGM_RSRC2:USER_SGPR: 6
; COMPUTE_PGM_RSRC2:TRAP_HANDLER: 0
; COMPUTE_PGM_RSRC2:TGID_X_EN: 1
; COMPUTE_PGM_RSRC2:TGID_Y_EN: 0
; COMPUTE_PGM_RSRC2:TGID_Z_EN: 0
; COMPUTE_PGM_RSRC2:TIDIG_COMP_CNT: 0
	.text
	.p2alignl 6, 3214868480
	.fill 48, 4, 3214868480
	.type	__hip_cuid_f15733174656347b,@object ; @__hip_cuid_f15733174656347b
	.section	.bss,"aw",@nobits
	.globl	__hip_cuid_f15733174656347b
__hip_cuid_f15733174656347b:
	.byte	0                               ; 0x0
	.size	__hip_cuid_f15733174656347b, 1

	.ident	"AMD clang version 19.0.0git (https://github.com/RadeonOpenCompute/llvm-project roc-6.4.0 25133 c7fe45cf4b819c5991fe208aaa96edf142730f1d)"
	.section	".note.GNU-stack","",@progbits
	.addrsig
	.addrsig_sym __hip_cuid_f15733174656347b
	.amdgpu_metadata
---
amdhsa.kernels:
  - .args:
      - .actual_access:  read_only
        .address_space:  global
        .offset:         0
        .size:           8
        .value_kind:     global_buffer
      - .actual_access:  read_only
        .address_space:  global
        .offset:         8
        .size:           8
        .value_kind:     global_buffer
      - .actual_access:  read_only
        .address_space:  global
        .offset:         16
        .size:           8
        .value_kind:     global_buffer
      - .actual_access:  read_only
        .address_space:  global
        .offset:         24
        .size:           8
        .value_kind:     global_buffer
      - .actual_access:  read_only
        .address_space:  global
        .offset:         32
        .size:           8
        .value_kind:     global_buffer
      - .offset:         40
        .size:           8
        .value_kind:     by_value
      - .address_space:  global
        .offset:         48
        .size:           8
        .value_kind:     global_buffer
      - .address_space:  global
        .offset:         56
        .size:           8
        .value_kind:     global_buffer
      - .address_space:  global
        .offset:         64
        .size:           8
        .value_kind:     global_buffer
      - .address_space:  global
        .offset:         72
        .size:           8
        .value_kind:     global_buffer
      - .offset:         80
        .size:           4
        .value_kind:     by_value
      - .address_space:  global
        .offset:         88
        .size:           8
        .value_kind:     global_buffer
      - .address_space:  global
        .offset:         96
        .size:           8
        .value_kind:     global_buffer
    .group_segment_fixed_size: 28512
    .kernarg_segment_align: 8
    .kernarg_segment_size: 104
    .language:       OpenCL C
    .language_version:
      - 2
      - 0
    .max_flat_workgroup_size: 99
    .name:           bluestein_single_back_len1782_dim1_dp_op_CI_CI
    .private_segment_fixed_size: 772
    .sgpr_count:     46
    .sgpr_spill_count: 0
    .symbol:         bluestein_single_back_len1782_dim1_dp_op_CI_CI.kd
    .uniform_work_group_size: 1
    .uses_dynamic_stack: false
    .vgpr_count:     256
    .vgpr_spill_count: 208
    .wavefront_size: 32
    .workgroup_processor_mode: 1
amdhsa.target:   amdgcn-amd-amdhsa--gfx1030
amdhsa.version:
  - 1
  - 2
...

	.end_amdgpu_metadata
